;; amdgpu-corpus repo=ROCm/rocFFT kind=compiled arch=gfx1030 opt=O3
	.text
	.amdgcn_target "amdgcn-amd-amdhsa--gfx1030"
	.amdhsa_code_object_version 6
	.protected	fft_rtc_fwd_len2250_factors_10_3_5_3_5_wgs_90_tpt_90_halfLds_dp_op_CI_CI_unitstride_sbrr_R2C_dirReg ; -- Begin function fft_rtc_fwd_len2250_factors_10_3_5_3_5_wgs_90_tpt_90_halfLds_dp_op_CI_CI_unitstride_sbrr_R2C_dirReg
	.globl	fft_rtc_fwd_len2250_factors_10_3_5_3_5_wgs_90_tpt_90_halfLds_dp_op_CI_CI_unitstride_sbrr_R2C_dirReg
	.p2align	8
	.type	fft_rtc_fwd_len2250_factors_10_3_5_3_5_wgs_90_tpt_90_halfLds_dp_op_CI_CI_unitstride_sbrr_R2C_dirReg,@function
fft_rtc_fwd_len2250_factors_10_3_5_3_5_wgs_90_tpt_90_halfLds_dp_op_CI_CI_unitstride_sbrr_R2C_dirReg: ; @fft_rtc_fwd_len2250_factors_10_3_5_3_5_wgs_90_tpt_90_halfLds_dp_op_CI_CI_unitstride_sbrr_R2C_dirReg
; %bb.0:
	s_clause 0x2
	s_load_dwordx4 s[12:15], s[4:5], 0x0
	s_load_dwordx4 s[8:11], s[4:5], 0x58
	;; [unrolled: 1-line block ×3, first 2 shown]
	v_mul_u32_u24_e32 v1, 0x2d9, v0
	v_mov_b32_e32 v3, 0
	s_mov_b64 s[30:31], s[2:3]
	s_mov_b64 s[28:29], s[0:1]
	v_add_nc_u32_sdwa v5, s6, v1 dst_sel:DWORD dst_unused:UNUSED_PAD src0_sel:DWORD src1_sel:WORD_1
	v_mov_b32_e32 v1, 0
	v_mov_b32_e32 v6, v3
	;; [unrolled: 1-line block ×3, first 2 shown]
	s_add_u32 s28, s28, s7
	s_addc_u32 s29, s29, 0
	s_waitcnt lgkmcnt(0)
	v_cmp_lt_u64_e64 s0, s[14:15], 2
	s_and_b32 vcc_lo, exec_lo, s0
	s_cbranch_vccnz .LBB0_8
; %bb.1:
	s_load_dwordx2 s[0:1], s[4:5], 0x10
	v_mov_b32_e32 v1, 0
	v_mov_b32_e32 v2, 0
	s_add_u32 s2, s18, 8
	s_addc_u32 s3, s19, 0
	s_add_u32 s6, s16, 8
	s_addc_u32 s7, s17, 0
	v_mov_b32_e32 v183, v2
	v_mov_b32_e32 v182, v1
	s_mov_b64 s[22:23], 1
	s_waitcnt lgkmcnt(0)
	s_add_u32 s20, s0, 8
	s_addc_u32 s21, s1, 0
.LBB0_2:                                ; =>This Inner Loop Header: Depth=1
	s_load_dwordx2 s[24:25], s[20:21], 0x0
                                        ; implicit-def: $vgpr184_vgpr185
	s_mov_b32 s0, exec_lo
	s_waitcnt lgkmcnt(0)
	v_or_b32_e32 v4, s25, v6
	v_cmpx_ne_u64_e32 0, v[3:4]
	s_xor_b32 s1, exec_lo, s0
	s_cbranch_execz .LBB0_4
; %bb.3:                                ;   in Loop: Header=BB0_2 Depth=1
	v_cvt_f32_u32_e32 v4, s24
	v_cvt_f32_u32_e32 v7, s25
	s_sub_u32 s0, 0, s24
	s_subb_u32 s26, 0, s25
	v_fmac_f32_e32 v4, 0x4f800000, v7
	v_rcp_f32_e32 v4, v4
	v_mul_f32_e32 v4, 0x5f7ffffc, v4
	v_mul_f32_e32 v7, 0x2f800000, v4
	v_trunc_f32_e32 v7, v7
	v_fmac_f32_e32 v4, 0xcf800000, v7
	v_cvt_u32_f32_e32 v7, v7
	v_cvt_u32_f32_e32 v4, v4
	v_mul_lo_u32 v8, s0, v7
	v_mul_hi_u32 v9, s0, v4
	v_mul_lo_u32 v10, s26, v4
	v_add_nc_u32_e32 v8, v9, v8
	v_mul_lo_u32 v9, s0, v4
	v_add_nc_u32_e32 v8, v8, v10
	v_mul_hi_u32 v10, v4, v9
	v_mul_lo_u32 v11, v4, v8
	v_mul_hi_u32 v12, v4, v8
	v_mul_hi_u32 v13, v7, v9
	v_mul_lo_u32 v9, v7, v9
	v_mul_hi_u32 v14, v7, v8
	v_mul_lo_u32 v8, v7, v8
	v_add_co_u32 v10, vcc_lo, v10, v11
	v_add_co_ci_u32_e32 v11, vcc_lo, 0, v12, vcc_lo
	v_add_co_u32 v9, vcc_lo, v10, v9
	v_add_co_ci_u32_e32 v9, vcc_lo, v11, v13, vcc_lo
	v_add_co_ci_u32_e32 v10, vcc_lo, 0, v14, vcc_lo
	v_add_co_u32 v8, vcc_lo, v9, v8
	v_add_co_ci_u32_e32 v9, vcc_lo, 0, v10, vcc_lo
	v_add_co_u32 v4, vcc_lo, v4, v8
	v_add_co_ci_u32_e32 v7, vcc_lo, v7, v9, vcc_lo
	v_mul_hi_u32 v8, s0, v4
	v_mul_lo_u32 v10, s26, v4
	v_mul_lo_u32 v9, s0, v7
	v_add_nc_u32_e32 v8, v8, v9
	v_mul_lo_u32 v9, s0, v4
	v_add_nc_u32_e32 v8, v8, v10
	v_mul_hi_u32 v10, v4, v9
	v_mul_lo_u32 v11, v4, v8
	v_mul_hi_u32 v12, v4, v8
	v_mul_hi_u32 v13, v7, v9
	v_mul_lo_u32 v9, v7, v9
	v_mul_hi_u32 v14, v7, v8
	v_mul_lo_u32 v8, v7, v8
	v_add_co_u32 v10, vcc_lo, v10, v11
	v_add_co_ci_u32_e32 v11, vcc_lo, 0, v12, vcc_lo
	v_add_co_u32 v9, vcc_lo, v10, v9
	v_add_co_ci_u32_e32 v9, vcc_lo, v11, v13, vcc_lo
	v_add_co_ci_u32_e32 v10, vcc_lo, 0, v14, vcc_lo
	v_add_co_u32 v8, vcc_lo, v9, v8
	v_add_co_ci_u32_e32 v9, vcc_lo, 0, v10, vcc_lo
	v_add_co_u32 v4, vcc_lo, v4, v8
	v_add_co_ci_u32_e32 v11, vcc_lo, v7, v9, vcc_lo
	v_mul_hi_u32 v13, v5, v4
	v_mad_u64_u32 v[9:10], null, v6, v4, 0
	v_mad_u64_u32 v[7:8], null, v5, v11, 0
	;; [unrolled: 1-line block ×3, first 2 shown]
	v_add_co_u32 v4, vcc_lo, v13, v7
	v_add_co_ci_u32_e32 v7, vcc_lo, 0, v8, vcc_lo
	v_add_co_u32 v4, vcc_lo, v4, v9
	v_add_co_ci_u32_e32 v4, vcc_lo, v7, v10, vcc_lo
	v_add_co_ci_u32_e32 v7, vcc_lo, 0, v12, vcc_lo
	v_add_co_u32 v4, vcc_lo, v4, v11
	v_add_co_ci_u32_e32 v9, vcc_lo, 0, v7, vcc_lo
	v_mul_lo_u32 v10, s25, v4
	v_mad_u64_u32 v[7:8], null, s24, v4, 0
	v_mul_lo_u32 v11, s24, v9
	v_sub_co_u32 v7, vcc_lo, v5, v7
	v_add3_u32 v8, v8, v11, v10
	v_sub_nc_u32_e32 v10, v6, v8
	v_subrev_co_ci_u32_e64 v10, s0, s25, v10, vcc_lo
	v_add_co_u32 v11, s0, v4, 2
	v_add_co_ci_u32_e64 v12, s0, 0, v9, s0
	v_sub_co_u32 v13, s0, v7, s24
	v_sub_co_ci_u32_e32 v8, vcc_lo, v6, v8, vcc_lo
	v_subrev_co_ci_u32_e64 v10, s0, 0, v10, s0
	v_cmp_le_u32_e32 vcc_lo, s24, v13
	v_cmp_eq_u32_e64 s0, s25, v8
	v_cndmask_b32_e64 v13, 0, -1, vcc_lo
	v_cmp_le_u32_e32 vcc_lo, s25, v10
	v_cndmask_b32_e64 v14, 0, -1, vcc_lo
	v_cmp_le_u32_e32 vcc_lo, s24, v7
	;; [unrolled: 2-line block ×3, first 2 shown]
	v_cndmask_b32_e64 v15, 0, -1, vcc_lo
	v_cmp_eq_u32_e32 vcc_lo, s25, v10
	v_cndmask_b32_e64 v7, v15, v7, s0
	v_cndmask_b32_e32 v10, v14, v13, vcc_lo
	v_add_co_u32 v13, vcc_lo, v4, 1
	v_add_co_ci_u32_e32 v14, vcc_lo, 0, v9, vcc_lo
	v_cmp_ne_u32_e32 vcc_lo, 0, v10
	v_cndmask_b32_e32 v8, v14, v12, vcc_lo
	v_cndmask_b32_e32 v10, v13, v11, vcc_lo
	v_cmp_ne_u32_e32 vcc_lo, 0, v7
	v_cndmask_b32_e32 v185, v9, v8, vcc_lo
	v_cndmask_b32_e32 v184, v4, v10, vcc_lo
.LBB0_4:                                ;   in Loop: Header=BB0_2 Depth=1
	s_andn2_saveexec_b32 s0, s1
	s_cbranch_execz .LBB0_6
; %bb.5:                                ;   in Loop: Header=BB0_2 Depth=1
	v_cvt_f32_u32_e32 v4, s24
	s_sub_i32 s1, 0, s24
	v_mov_b32_e32 v185, v3
	v_rcp_iflag_f32_e32 v4, v4
	v_mul_f32_e32 v4, 0x4f7ffffe, v4
	v_cvt_u32_f32_e32 v4, v4
	v_mul_lo_u32 v7, s1, v4
	v_mul_hi_u32 v7, v4, v7
	v_add_nc_u32_e32 v4, v4, v7
	v_mul_hi_u32 v4, v5, v4
	v_mul_lo_u32 v7, v4, s24
	v_add_nc_u32_e32 v8, 1, v4
	v_sub_nc_u32_e32 v7, v5, v7
	v_subrev_nc_u32_e32 v9, s24, v7
	v_cmp_le_u32_e32 vcc_lo, s24, v7
	v_cndmask_b32_e32 v7, v7, v9, vcc_lo
	v_cndmask_b32_e32 v4, v4, v8, vcc_lo
	v_cmp_le_u32_e32 vcc_lo, s24, v7
	v_add_nc_u32_e32 v8, 1, v4
	v_cndmask_b32_e32 v184, v4, v8, vcc_lo
.LBB0_6:                                ;   in Loop: Header=BB0_2 Depth=1
	s_or_b32 exec_lo, exec_lo, s0
	v_mul_lo_u32 v4, v185, s24
	v_mul_lo_u32 v9, v184, s25
	s_load_dwordx2 s[0:1], s[6:7], 0x0
	v_mad_u64_u32 v[7:8], null, v184, s24, 0
	s_load_dwordx2 s[24:25], s[2:3], 0x0
	s_add_u32 s22, s22, 1
	s_addc_u32 s23, s23, 0
	s_add_u32 s2, s2, 8
	s_addc_u32 s3, s3, 0
	s_add_u32 s6, s6, 8
	v_add3_u32 v4, v8, v9, v4
	v_sub_co_u32 v5, vcc_lo, v5, v7
	s_addc_u32 s7, s7, 0
	s_add_u32 s20, s20, 8
	v_sub_co_ci_u32_e32 v4, vcc_lo, v6, v4, vcc_lo
	s_addc_u32 s21, s21, 0
	s_waitcnt lgkmcnt(0)
	v_mul_lo_u32 v6, s0, v4
	v_mul_lo_u32 v7, s1, v5
	v_mad_u64_u32 v[1:2], null, s0, v5, v[1:2]
	v_mul_lo_u32 v4, s24, v4
	v_mul_lo_u32 v8, s25, v5
	v_mad_u64_u32 v[182:183], null, s24, v5, v[182:183]
	v_cmp_ge_u64_e64 s0, s[22:23], s[14:15]
	v_add3_u32 v2, v7, v2, v6
	v_add3_u32 v183, v8, v183, v4
	s_and_b32 vcc_lo, exec_lo, s0
	s_cbranch_vccnz .LBB0_9
; %bb.7:                                ;   in Loop: Header=BB0_2 Depth=1
	v_mov_b32_e32 v5, v184
	v_mov_b32_e32 v6, v185
	s_branch .LBB0_2
.LBB0_8:
	v_mov_b32_e32 v183, v2
	v_mov_b32_e32 v185, v6
	;; [unrolled: 1-line block ×4, first 2 shown]
.LBB0_9:
	s_load_dwordx2 s[0:1], s[4:5], 0x28
	v_mul_hi_u32 v3, 0x2d82d83, v0
	s_lshl_b64 s[4:5], s[14:15], 3
                                        ; implicit-def: $vgpr180
                                        ; implicit-def: $vgpr186
                                        ; implicit-def: $vgpr228
	s_add_u32 s2, s18, s4
	s_addc_u32 s3, s19, s5
	s_waitcnt lgkmcnt(0)
	v_cmp_gt_u64_e32 vcc_lo, s[0:1], v[184:185]
	v_cmp_le_u64_e64 s0, s[0:1], v[184:185]
	s_and_saveexec_b32 s1, s0
	s_xor_b32 s0, exec_lo, s1
; %bb.10:
	v_mul_u32_u24_e32 v1, 0x5a, v3
                                        ; implicit-def: $vgpr3
	v_sub_nc_u32_e32 v180, v0, v1
                                        ; implicit-def: $vgpr0
                                        ; implicit-def: $vgpr1_vgpr2
	v_add_nc_u32_e32 v186, 0x5a, v180
	v_add_nc_u32_e32 v228, 0xb4, v180
; %bb.11:
	s_andn2_saveexec_b32 s1, s0
	s_cbranch_execz .LBB0_13
; %bb.12:
	s_add_u32 s4, s16, s4
	s_addc_u32 s5, s17, s5
	v_lshlrev_b64 v[1:2], 4, v[1:2]
	s_load_dwordx2 s[4:5], s[4:5], 0x0
	s_waitcnt lgkmcnt(0)
	v_mul_lo_u32 v6, s5, v184
	v_mul_lo_u32 v7, s4, v185
	v_mad_u64_u32 v[4:5], null, s4, v184, 0
	v_add3_u32 v5, v5, v7, v6
	v_mul_u32_u24_e32 v6, 0x5a, v3
	v_lshlrev_b64 v[3:4], 4, v[4:5]
	v_sub_nc_u32_e32 v180, v0, v6
	v_lshlrev_b32_e32 v100, 4, v180
	v_add_co_u32 v0, s0, s8, v3
	v_add_co_ci_u32_e64 v3, s0, s9, v4, s0
	v_add_nc_u32_e32 v186, 0x5a, v180
	v_add_co_u32 v0, s0, v0, v1
	v_add_co_ci_u32_e64 v1, s0, v3, v2, s0
	v_add_nc_u32_e32 v228, 0xb4, v180
	v_add_co_u32 v40, s0, v0, v100
	v_add_co_ci_u32_e64 v41, s0, 0, v1, s0
	s_clause 0x1
	global_load_dwordx4 v[0:3], v[40:41], off
	global_load_dwordx4 v[4:7], v[40:41], off offset:1440
	v_add_co_u32 v8, s0, 0x800, v40
	v_add_co_ci_u32_e64 v9, s0, 0, v41, s0
	v_add_co_u32 v16, s0, 0x1000, v40
	v_add_co_ci_u32_e64 v17, s0, 0, v41, s0
	;; [unrolled: 2-line block ×16, first 2 shown]
	s_clause 0x16
	global_load_dwordx4 v[8:11], v[8:9], off offset:832
	global_load_dwordx4 v[12:15], v[16:17], off offset:224
	;; [unrolled: 1-line block ×23, first 2 shown]
	v_add_nc_u32_e32 v100, 0, v100
	s_waitcnt vmcnt(24)
	ds_write_b128 v100, v[0:3]
	s_waitcnt vmcnt(23)
	ds_write_b128 v100, v[4:7] offset:1440
	s_waitcnt vmcnt(22)
	ds_write_b128 v100, v[8:11] offset:2880
	s_waitcnt vmcnt(21)
	ds_write_b128 v100, v[12:15] offset:4320
	s_waitcnt vmcnt(20)
	ds_write_b128 v100, v[16:19] offset:5760
	s_waitcnt vmcnt(19)
	ds_write_b128 v100, v[20:23] offset:7200
	s_waitcnt vmcnt(18)
	ds_write_b128 v100, v[24:27] offset:8640
	s_waitcnt vmcnt(17)
	ds_write_b128 v100, v[28:31] offset:10080
	s_waitcnt vmcnt(16)
	ds_write_b128 v100, v[32:35] offset:11520
	s_waitcnt vmcnt(15)
	ds_write_b128 v100, v[36:39] offset:12960
	s_waitcnt vmcnt(14)
	ds_write_b128 v100, v[40:43] offset:14400
	s_waitcnt vmcnt(13)
	ds_write_b128 v100, v[44:47] offset:15840
	s_waitcnt vmcnt(12)
	ds_write_b128 v100, v[48:51] offset:17280
	s_waitcnt vmcnt(11)
	ds_write_b128 v100, v[52:55] offset:18720
	s_waitcnt vmcnt(10)
	ds_write_b128 v100, v[56:59] offset:20160
	s_waitcnt vmcnt(9)
	ds_write_b128 v100, v[60:63] offset:21600
	s_waitcnt vmcnt(8)
	ds_write_b128 v100, v[64:67] offset:23040
	s_waitcnt vmcnt(7)
	ds_write_b128 v100, v[68:71] offset:24480
	s_waitcnt vmcnt(6)
	ds_write_b128 v100, v[72:75] offset:25920
	s_waitcnt vmcnt(5)
	ds_write_b128 v100, v[76:79] offset:27360
	s_waitcnt vmcnt(4)
	ds_write_b128 v100, v[80:83] offset:28800
	s_waitcnt vmcnt(3)
	ds_write_b128 v100, v[84:87] offset:30240
	s_waitcnt vmcnt(2)
	ds_write_b128 v100, v[88:91] offset:31680
	s_waitcnt vmcnt(1)
	ds_write_b128 v100, v[92:95] offset:33120
	s_waitcnt vmcnt(0)
	ds_write_b128 v100, v[96:99] offset:34560
.LBB0_13:
	s_or_b32 exec_lo, exec_lo, s1
	v_lshl_add_u32 v197, v180, 4, 0
	s_load_dwordx2 s[4:5], s[2:3], 0x0
	s_waitcnt lgkmcnt(0)
	s_barrier
	buffer_gl0_inv
	ds_read_b128 v[48:51], v197 offset:25200
	ds_read_b128 v[56:59], v197 offset:18000
	;; [unrolled: 1-line block ×9, first 2 shown]
	ds_read_b128 v[68:71], v197
	ds_read_b128 v[4:7], v197 offset:1440
	ds_read_b128 v[72:75], v197 offset:7200
	;; [unrolled: 1-line block ×10, first 2 shown]
	s_mov_b32 s2, 0x134454ff
	s_mov_b32 s3, 0x3fee6f0e
	;; [unrolled: 1-line block ×11, first 2 shown]
	s_waitcnt lgkmcnt(8)
	v_add_f64 v[114:115], v[68:69], v[72:73]
	v_add_f64 v[116:117], v[70:71], v[74:75]
	s_mov_b32 s1, 0x3fe9e377
	v_add_f64 v[40:41], v[56:57], v[48:49]
	v_add_f64 v[100:101], v[58:59], v[50:51]
	v_add_f64 v[44:45], v[62:63], v[54:55]
	v_add_f64 v[96:97], v[60:61], v[52:53]
	v_add_f64 v[102:103], v[62:63], -v[54:55]
	v_add_f64 v[106:107], v[56:57], -v[48:49]
	;; [unrolled: 1-line block ×3, first 2 shown]
	s_waitcnt lgkmcnt(5)
	v_add_f64 v[118:119], v[80:81], v[76:77]
	v_add_f64 v[126:127], v[82:83], v[78:79]
	v_add_f64 v[130:131], v[60:61], -v[56:57]
	v_add_f64 v[132:133], v[60:61], -v[52:53]
	;; [unrolled: 1-line block ×3, first 2 shown]
	s_waitcnt lgkmcnt(2)
	v_add_f64 v[136:137], v[72:73], v[84:85]
	v_add_f64 v[142:143], v[58:59], -v[62:63]
	v_add_f64 v[144:145], v[50:51], -v[54:55]
	;; [unrolled: 1-line block ×4, first 2 shown]
	v_add_f64 v[140:141], v[74:75], v[86:87]
	v_add_f64 v[148:149], v[56:57], -v[60:61]
	v_add_f64 v[150:151], v[48:49], -v[52:53]
	;; [unrolled: 1-line block ×3, first 2 shown]
	v_add_f64 v[60:61], v[64:65], v[60:61]
	v_fma_f64 v[104:105], v[40:41], -0.5, v[64:65]
	v_fma_f64 v[100:101], v[100:101], -0.5, v[66:67]
	v_fma_f64 v[108:109], v[44:45], -0.5, v[66:67]
	v_fma_f64 v[112:113], v[96:97], -0.5, v[64:65]
	v_add_f64 v[64:65], v[66:67], v[62:63]
	v_add_f64 v[62:63], v[62:63], -v[58:59]
	v_add_f64 v[158:159], v[54:55], -v[50:51]
	v_fma_f64 v[118:119], v[118:119], -0.5, v[68:69]
	v_fma_f64 v[126:127], v[126:127], -0.5, v[70:71]
	v_add_f64 v[120:121], v[82:83], -v[78:79]
	v_add_f64 v[156:157], v[74:75], -v[86:87]
	v_add_f64 v[130:131], v[130:131], v[134:135]
	v_fma_f64 v[68:69], v[136:137], -0.5, v[68:69]
	v_add_f64 v[66:67], v[84:85], -v[76:77]
	v_add_f64 v[136:137], v[142:143], v[144:145]
	v_add_f64 v[128:129], v[80:81], -v[76:77]
	v_add_f64 v[154:155], v[74:75], -v[82:83]
	;; [unrolled: 1-line block ×3, first 2 shown]
	v_fma_f64 v[70:71], v[140:141], -0.5, v[70:71]
	v_add_f64 v[140:141], v[148:149], v[150:151]
	v_add_f64 v[80:81], v[114:115], v[80:81]
	;; [unrolled: 1-line block ×3, first 2 shown]
	v_fma_f64 v[138:139], v[102:103], s[2:3], v[104:105]
	v_fma_f64 v[134:135], v[132:133], s[8:9], v[100:101]
	v_fma_f64 v[146:147], v[106:107], s[2:3], v[108:109]
	v_fma_f64 v[152:153], v[110:111], s[8:9], v[112:113]
	v_fma_f64 v[112:113], v[110:111], s[2:3], v[112:113]
	v_fma_f64 v[108:109], v[106:107], s[8:9], v[108:109]
	v_add_f64 v[56:57], v[60:61], v[56:57]
	v_add_f64 v[58:59], v[64:65], v[58:59]
	v_add_f64 v[60:61], v[82:83], -v[74:75]
	v_fma_f64 v[64:65], v[102:103], s[8:9], v[104:105]
	v_fma_f64 v[74:75], v[132:133], s[2:3], v[100:101]
	v_add_f64 v[82:83], v[62:63], v[158:159]
	v_fma_f64 v[62:63], v[156:157], s[2:3], v[118:119]
	v_add_f64 v[116:117], v[78:79], -v[86:87]
	v_add_f64 v[122:123], v[122:123], v[66:67]
	v_fma_f64 v[66:67], v[120:121], s[8:9], v[68:69]
	ds_read_b128 v[88:91], v197 offset:5040
	ds_read_b128 v[40:43], v197 offset:6480
	;; [unrolled: 1-line block ×5, first 2 shown]
	v_mul_u32_u24_e32 v164, 10, v180
	s_waitcnt lgkmcnt(6)
	v_add_f64 v[168:169], v[34:35], -v[2:3]
	v_add_f64 v[78:79], v[114:115], v[78:79]
	v_fma_f64 v[138:139], v[110:111], s[14:15], v[138:139]
	v_fma_f64 v[104:105], v[106:107], s[16:17], v[134:135]
	v_fma_f64 v[142:143], v[132:133], s[16:17], v[146:147]
	v_fma_f64 v[144:145], v[102:103], s[14:15], v[152:153]
	v_fma_f64 v[100:101], v[102:103], s[16:17], v[112:113]
	v_fma_f64 v[102:103], v[72:73], s[8:9], v[126:127]
	v_fma_f64 v[108:109], v[132:133], s[14:15], v[108:109]
	v_add_f64 v[146:147], v[76:77], -v[84:85]
	v_add_f64 v[134:135], v[154:155], v[160:161]
	v_add_f64 v[76:77], v[80:81], v[76:77]
	;; [unrolled: 1-line block ×4, first 2 shown]
	v_fma_f64 v[56:57], v[120:121], s[2:3], v[68:69]
	v_fma_f64 v[58:59], v[110:111], s[16:17], v[64:65]
	;; [unrolled: 1-line block ×5, first 2 shown]
	s_waitcnt lgkmcnt(2)
	v_add_f64 v[148:149], v[90:91], v[94:95]
	v_lshl_add_u32 v187, v164, 4, 0
	v_add_f64 v[164:165], v[8:9], -v[36:37]
	v_add_f64 v[176:177], v[26:27], -v[18:19]
	v_add_f64 v[78:79], v[78:79], v[86:87]
	v_fma_f64 v[112:113], v[130:131], s[6:7], v[138:139]
	v_fma_f64 v[138:139], v[128:129], s[2:3], v[70:71]
	;; [unrolled: 1-line block ×8, first 2 shown]
	v_add_f64 v[124:125], v[124:125], v[146:147]
	v_fma_f64 v[70:71], v[120:121], s[14:15], v[62:63]
	v_add_f64 v[108:109], v[60:61], v[116:117]
	ds_read_b128 v[60:63], v197 offset:19440
	v_add_f64 v[76:77], v[76:77], v[84:85]
	v_add_f64 v[84:85], v[48:49], v[52:53]
	;; [unrolled: 1-line block ×3, first 2 shown]
	ds_read_b128 v[48:51], v197 offset:20880
	v_fma_f64 v[56:57], v[156:157], s[16:17], v[56:57]
	ds_read_b128 v[52:55], v197 offset:28080
	v_fma_f64 v[82:83], v[82:83], s[6:7], v[64:65]
	v_add_f64 v[146:147], v[88:89], v[92:93]
	v_mul_f64 v[106:107], v[112:113], s[16:17]
	v_mul_f64 v[104:105], v[112:113], s[0:1]
	;; [unrolled: 1-line block ×3, first 2 shown]
	v_fma_f64 v[112:113], v[156:157], s[8:9], v[118:119]
	v_fma_f64 v[114:115], v[72:73], s[16:17], v[138:139]
	v_mul_f64 v[116:117], v[142:143], s[8:9]
	v_fma_f64 v[118:119], v[72:73], s[2:3], v[126:127]
	v_fma_f64 v[126:127], v[130:131], s[6:7], v[58:59]
	;; [unrolled: 1-line block ×3, first 2 shown]
	v_mul_f64 v[72:73], v[74:75], s[6:7]
	v_fma_f64 v[80:81], v[134:135], s[6:7], v[80:81]
	v_mul_f64 v[136:137], v[102:103], s[6:7]
	v_fma_f64 v[138:139], v[124:125], s[6:7], v[66:67]
	ds_read_b128 v[64:67], v197 offset:33840
	v_fma_f64 v[130:131], v[122:123], s[6:7], v[70:71]
	v_add_f64 v[68:69], v[76:77], v[84:85]
	v_add_f64 v[70:71], v[78:79], v[86:87]
	s_waitcnt lgkmcnt(3)
	v_add_f64 v[148:149], v[148:149], v[62:63]
	v_add_f64 v[146:147], v[146:147], v[60:61]
	v_fma_f64 v[106:107], v[100:101], s[0:1], v[106:107]
	v_fma_f64 v[104:105], v[100:101], s[14:15], v[104:105]
	;; [unrolled: 1-line block ×3, first 2 shown]
	v_add_f64 v[110:111], v[60:61], v[96:97]
	v_fma_f64 v[114:115], v[108:109], s[6:7], v[114:115]
	v_fma_f64 v[116:117], v[132:133], s[6:7], v[116:117]
	;; [unrolled: 1-line block ×3, first 2 shown]
	v_mul_f64 v[120:121], v[126:127], s[0:1]
	v_add_f64 v[100:101], v[76:77], -v[84:85]
	v_fma_f64 v[76:77], v[124:125], s[6:7], v[56:57]
	v_fma_f64 v[84:85], v[102:103], s[2:3], -v[72:73]
	v_add_f64 v[102:103], v[78:79], -v[86:87]
	v_fma_f64 v[78:79], v[108:109], s[6:7], v[58:59]
	ds_read_b128 v[56:59], v197 offset:35280
	v_fma_f64 v[86:87], v[74:75], s[8:9], -v[136:137]
	s_waitcnt lgkmcnt(1)
	v_add_f64 v[132:133], v[94:95], -v[66:67]
	v_add_f64 v[142:143], v[92:93], v[64:65]
	v_fma_f64 v[118:119], v[128:129], s[14:15], v[118:119]
	v_mul_f64 v[128:129], v[82:83], s[0:1]
	v_add_f64 v[124:125], v[94:95], v[66:67]
	v_add_f64 v[150:151], v[92:93], -v[64:65]
	v_add_f64 v[152:153], v[64:65], -v[96:97]
	v_add_f64 v[74:75], v[80:81], v[106:107]
	v_add_f64 v[106:107], v[80:81], -v[106:107]
	v_add_f64 v[80:81], v[62:63], v[98:99]
	v_fma_f64 v[136:137], v[110:111], -0.5, v[88:89]
	v_add_f64 v[72:73], v[130:131], v[104:105]
	v_add_f64 v[104:105], v[130:131], -v[104:105]
	v_add_f64 v[108:109], v[138:139], v[140:141]
	v_add_f64 v[110:111], v[114:115], v[116:117]
	v_fma_f64 v[130:131], v[122:123], s[6:7], v[112:113]
	v_fma_f64 v[82:83], v[82:83], s[14:15], -v[120:121]
	v_add_f64 v[112:113], v[138:139], -v[140:141]
	v_add_f64 v[114:115], v[114:115], -v[116:117]
	v_add_f64 v[116:117], v[76:77], v[84:85]
	v_add_f64 v[138:139], v[4:5], v[8:9]
	;; [unrolled: 1-line block ×3, first 2 shown]
	v_add_f64 v[120:121], v[76:77], -v[84:85]
	v_add_f64 v[76:77], v[62:63], -v[98:99]
	;; [unrolled: 1-line block ×3, first 2 shown]
	v_fma_f64 v[88:89], v[142:143], -0.5, v[88:89]
	v_fma_f64 v[134:135], v[134:135], s[6:7], v[118:119]
	v_fma_f64 v[144:145], v[126:127], s[16:17], -v[128:129]
	v_add_f64 v[118:119], v[78:79], v[86:87]
	v_add_f64 v[122:123], v[78:79], -v[86:87]
	v_add_f64 v[78:79], v[60:61], -v[96:97]
	v_fma_f64 v[80:81], v[80:81], -0.5, v[90:91]
	v_fma_f64 v[154:155], v[132:133], s[2:3], v[136:137]
	v_fma_f64 v[86:87], v[124:125], -0.5, v[90:91]
	v_add_f64 v[90:91], v[36:37], v[0:1]
	v_add_f64 v[60:61], v[60:61], -v[92:93]
	v_add_f64 v[92:93], v[94:95], -v[62:63]
	;; [unrolled: 1-line block ×3, first 2 shown]
	v_add_f64 v[124:125], v[130:131], v[82:83]
	v_add_f64 v[128:129], v[130:131], -v[82:83]
	v_add_f64 v[82:83], v[38:39], v[2:3]
	v_add_f64 v[94:95], v[66:67], -v[98:99]
	v_add_f64 v[138:139], v[138:139], v[36:37]
	v_add_f64 v[140:141], v[140:141], v[38:39]
	v_add_f64 v[156:157], v[96:97], -v[64:65]
	v_add_f64 v[158:159], v[98:99], -v[66:67]
	v_add_f64 v[84:85], v[84:85], v[152:153]
	v_fma_f64 v[162:163], v[76:77], s[8:9], v[88:89]
	v_add_f64 v[142:143], v[10:11], -v[34:35]
	v_add_f64 v[126:127], v[134:135], v[144:145]
	v_add_f64 v[130:131], v[134:135], -v[144:145]
	v_add_f64 v[134:135], v[8:9], -v[32:33]
	v_add_f64 v[96:97], v[146:147], v[96:97]
	v_fma_f64 v[152:153], v[150:151], s[8:9], v[80:81]
	v_fma_f64 v[154:155], v[76:77], s[14:15], v[154:155]
	;; [unrolled: 1-line block ×3, first 2 shown]
	v_fma_f64 v[90:91], v[90:91], -0.5, v[4:5]
	v_add_f64 v[98:99], v[148:149], v[98:99]
	s_waitcnt lgkmcnt(0)
	s_barrier
	v_add_f64 v[144:145], v[38:39], -v[2:3]
	v_add_f64 v[146:147], v[36:37], -v[0:1]
	v_fma_f64 v[82:83], v[82:83], -0.5, v[6:7]
	v_add_f64 v[166:167], v[92:93], v[94:95]
	v_add_f64 v[138:139], v[138:139], v[0:1]
	;; [unrolled: 1-line block ×3, first 2 shown]
	v_add_f64 v[148:149], v[32:33], -v[0:1]
	buffer_gl0_inv
	ds_write_b128 v187, v[68:71]
	ds_write_b128 v187, v[72:75] offset:16
	v_add_f64 v[70:71], v[48:49], v[52:53]
	v_add_f64 v[0:1], v[0:1], -v[32:33]
	v_fma_f64 v[86:87], v[78:79], s[8:9], v[86:87]
	v_add_f64 v[2:3], v[2:3], -v[34:35]
	v_fma_f64 v[80:81], v[150:151], s[2:3], v[80:81]
	v_add_f64 v[64:65], v[96:97], v[64:65]
	v_fma_f64 v[92:93], v[78:79], s[16:17], v[152:153]
	v_fma_f64 v[94:95], v[84:85], s[6:7], v[154:155]
	v_add_f64 v[152:153], v[60:61], v[156:157]
	v_add_f64 v[154:155], v[62:63], v[158:159]
	v_fma_f64 v[62:63], v[132:133], s[14:15], v[162:163]
	v_fma_f64 v[60:61], v[150:151], s[16:17], v[160:161]
	v_fma_f64 v[156:157], v[142:143], s[2:3], v[90:91]
	v_add_f64 v[158:159], v[8:9], v[32:33]
	v_add_f64 v[162:163], v[10:11], -v[38:39]
	v_fma_f64 v[170:171], v[134:135], s[8:9], v[82:83]
	v_add_f64 v[66:67], v[98:99], v[66:67]
	v_add_f64 v[68:69], v[138:139], v[32:33]
	;; [unrolled: 1-line block ×3, first 2 shown]
	v_add_f64 v[8:9], v[36:37], -v[8:9]
	v_add_f64 v[36:37], v[50:51], v[54:55]
	v_add_f64 v[160:161], v[10:11], v[34:35]
	;; [unrolled: 1-line block ×3, first 2 shown]
	v_add_f64 v[10:11], v[38:39], -v[10:11]
	v_fma_f64 v[70:71], v[70:71], -0.5, v[40:41]
	v_add_f64 v[32:33], v[46:47], -v[58:59]
	v_add_f64 v[34:35], v[44:45], -v[56:57]
	v_fma_f64 v[86:87], v[150:151], s[14:15], v[86:87]
	v_fma_f64 v[138:139], v[166:167], s[6:7], v[92:93]
	v_mul_f64 v[140:141], v[94:95], s[0:1]
	v_mul_f64 v[148:149], v[94:95], s[16:17]
	v_add_f64 v[150:151], v[44:45], -v[48:49]
	v_fma_f64 v[172:173], v[152:153], s[6:7], v[62:63]
	v_fma_f64 v[164:165], v[154:155], s[6:7], v[60:61]
	;; [unrolled: 1-line block ×3, first 2 shown]
	v_fma_f64 v[4:5], v[158:159], -0.5, v[4:5]
	v_add_f64 v[156:157], v[162:163], v[168:169]
	v_fma_f64 v[38:39], v[146:147], s[16:17], v[170:171]
	v_fma_f64 v[62:63], v[76:77], s[2:3], v[88:89]
	v_add_f64 v[92:93], v[68:69], v[64:65]
	v_add_f64 v[94:95], v[72:73], v[66:67]
	v_add_f64 v[96:97], v[68:69], -v[64:65]
	v_fma_f64 v[64:65], v[36:37], -0.5, v[42:43]
	v_add_f64 v[98:99], v[72:73], -v[66:67]
	v_fma_f64 v[6:7], v[160:161], -0.5, v[6:7]
	v_fma_f64 v[88:89], v[132:133], s[8:9], v[136:137]
	v_add_f64 v[136:137], v[14:15], v[18:19]
	v_add_f64 v[160:161], v[56:57], -v[52:53]
	v_fma_f64 v[162:163], v[32:33], s[8:9], v[70:71]
	v_add_f64 v[168:169], v[46:47], -v[50:51]
	v_add_f64 v[170:171], v[58:59], -v[54:55]
	v_fma_f64 v[140:141], v[138:139], s[14:15], v[140:141]
	v_fma_f64 v[138:139], v[138:139], s[0:1], v[148:149]
	v_add_f64 v[2:3], v[10:11], v[2:3]
	v_mul_f64 v[66:67], v[172:173], s[8:9]
	v_mul_f64 v[36:37], v[164:165], s[2:3]
	v_fma_f64 v[148:149], v[74:75], s[6:7], v[60:61]
	v_fma_f64 v[68:69], v[144:145], s[8:9], v[4:5]
	v_add_f64 v[60:61], v[50:51], -v[54:55]
	v_fma_f64 v[158:159], v[156:157], s[6:7], v[38:39]
	v_add_f64 v[38:39], v[12:13], v[16:17]
	v_fma_f64 v[132:133], v[132:133], s[16:17], v[62:63]
	v_add_f64 v[62:63], v[48:49], -v[52:53]
	v_add_f64 v[0:1], v[8:9], v[0:1]
	v_fma_f64 v[174:175], v[34:35], s[2:3], v[64:65]
	v_fma_f64 v[86:87], v[154:155], s[6:7], v[86:87]
	;; [unrolled: 1-line block ×3, first 2 shown]
	v_add_f64 v[154:155], v[28:29], v[20:21]
	v_fma_f64 v[72:73], v[146:147], s[2:3], v[6:7]
	v_fma_f64 v[4:5], v[144:145], s[2:3], v[4:5]
	;; [unrolled: 1-line block ×5, first 2 shown]
	ds_write_b128 v187, v[108:111] offset:32
	ds_write_b128 v187, v[116:119] offset:48
	ds_write_b128 v187, v[124:127] offset:64
	ds_write_b128 v187, v[100:103] offset:80
	v_fma_f64 v[10:11], v[164:165], s[6:7], v[66:67]
	v_fma_f64 v[66:67], v[32:33], s[2:3], v[70:71]
	;; [unrolled: 1-line block ×6, first 2 shown]
	v_fma_f64 v[78:79], v[38:39], -0.5, v[28:29]
	v_add_f64 v[36:37], v[22:23], -v[26:27]
	v_fma_f64 v[80:81], v[152:153], s[6:7], v[132:133]
	v_fma_f64 v[88:89], v[136:137], -0.5, v[30:31]
	v_add_f64 v[38:39], v[20:21], -v[24:25]
	v_add_f64 v[132:133], v[150:151], v[160:161]
	v_fma_f64 v[136:137], v[60:61], s[16:17], v[162:163]
	v_add_f64 v[150:151], v[168:169], v[170:171]
	v_fma_f64 v[152:153], v[62:63], s[14:15], v[174:175]
	v_add_f64 v[160:161], v[30:31], v[22:23]
	v_add_f64 v[162:163], v[40:41], v[44:45]
	;; [unrolled: 1-line block ×3, first 2 shown]
	v_add_f64 v[168:169], v[24:25], -v[16:17]
	v_add_f64 v[174:175], v[22:23], -v[14:15]
	v_fma_f64 v[64:65], v[62:63], s[16:17], v[64:65]
	v_add_f64 v[154:155], v[154:155], v[12:13]
	v_fma_f64 v[72:73], v[134:135], s[16:17], v[72:73]
	v_fma_f64 v[66:67], v[60:61], s[14:15], v[66:67]
	v_fma_f64 v[4:5], v[142:143], s[16:17], v[4:5]
	v_fma_f64 v[6:7], v[134:135], s[14:15], v[6:7]
	v_fma_f64 v[84:85], v[84:85], s[6:7], v[68:69]
	v_fma_f64 v[76:77], v[166:167], s[6:7], v[76:77]
	v_add_f64 v[166:167], v[20:21], -v[12:13]
	v_fma_f64 v[170:171], v[36:37], s[2:3], v[78:79]
	v_add_f64 v[68:69], v[14:15], -v[18:19]
	v_fma_f64 v[172:173], v[36:37], s[8:9], v[78:79]
	v_fma_f64 v[178:179], v[38:39], s[8:9], v[88:89]
	v_add_f64 v[78:79], v[12:13], -v[16:17]
	v_fma_f64 v[88:89], v[38:39], s[2:3], v[88:89]
	v_fma_f64 v[136:137], v[132:133], s[6:7], v[136:137]
	;; [unrolled: 1-line block ×3, first 2 shown]
	v_add_f64 v[160:161], v[160:161], v[14:15]
	v_add_f64 v[162:163], v[162:163], v[48:49]
	;; [unrolled: 1-line block ×3, first 2 shown]
	v_mul_f64 v[134:135], v[86:87], s[6:7]
	v_fma_f64 v[90:91], v[144:145], s[16:17], v[90:91]
	v_fma_f64 v[82:83], v[146:147], s[14:15], v[82:83]
	;; [unrolled: 1-line block ×3, first 2 shown]
	v_add_f64 v[154:155], v[154:155], v[16:17]
	v_fma_f64 v[66:67], v[132:133], s[6:7], v[66:67]
	v_mul_f64 v[132:133], v[80:81], s[6:7]
	v_fma_f64 v[191:192], v[0:1], s[6:7], v[70:71]
	v_mul_f64 v[142:143], v[84:85], s[0:1]
	v_mul_f64 v[144:145], v[76:77], s[0:1]
	v_add_f64 v[146:147], v[166:167], v[168:169]
	v_fma_f64 v[193:194], v[2:3], s[6:7], v[72:73]
	v_fma_f64 v[166:167], v[68:69], s[14:15], v[170:171]
	v_fma_f64 v[168:169], v[68:69], s[16:17], v[172:173]
	v_add_f64 v[170:171], v[174:175], v[176:177]
	v_fma_f64 v[172:173], v[78:79], s[16:17], v[178:179]
	v_fma_f64 v[88:89], v[78:79], s[14:15], v[88:89]
	v_mul_f64 v[174:175], v[136:137], s[0:1]
	v_mul_f64 v[176:177], v[152:153], s[0:1]
	v_add_f64 v[160:161], v[160:161], v[18:19]
	v_add_f64 v[162:163], v[162:163], v[52:53]
	;; [unrolled: 1-line block ×3, first 2 shown]
	v_fma_f64 v[0:1], v[0:1], s[6:7], v[4:5]
	v_fma_f64 v[2:3], v[2:3], s[6:7], v[6:7]
	v_fma_f64 v[6:7], v[80:81], s[8:9], -v[134:135]
	v_fma_f64 v[195:196], v[74:75], s[6:7], v[90:91]
	v_fma_f64 v[198:199], v[156:157], s[6:7], v[82:83]
	v_mul_f64 v[178:179], v[66:67], s[0:1]
	v_mul_f64 v[189:190], v[66:67], s[16:17]
	v_fma_f64 v[4:5], v[86:87], s[2:3], -v[132:133]
	v_fma_f64 v[200:201], v[76:77], s[14:15], -v[142:143]
	;; [unrolled: 1-line block ×3, first 2 shown]
	v_add_f64 v[72:73], v[154:155], v[24:25]
	v_add_f64 v[132:133], v[148:149], v[140:141]
	v_fma_f64 v[70:71], v[146:147], s[6:7], v[166:167]
	v_fma_f64 v[64:65], v[146:147], s[6:7], v[168:169]
	v_add_f64 v[134:135], v[158:159], v[138:139]
	v_fma_f64 v[80:81], v[170:171], s[6:7], v[172:173]
	v_fma_f64 v[88:89], v[170:171], s[6:7], v[88:89]
	v_fma_f64 v[66:67], v[152:153], s[14:15], -v[174:175]
	v_fma_f64 v[90:91], v[136:137], s[16:17], -v[176:177]
	v_add_f64 v[82:83], v[160:161], v[26:27]
	v_add_f64 v[74:75], v[162:163], v[56:57]
	;; [unrolled: 1-line block ×3, first 2 shown]
	v_add_f64 v[136:137], v[148:149], -v[140:141]
	v_add_f64 v[138:139], v[158:159], -v[138:139]
	v_add_f64 v[140:141], v[191:192], v[8:9]
	v_add_f64 v[142:143], v[193:194], v[10:11]
	v_add_f64 v[144:145], v[191:192], -v[8:9]
	v_fma_f64 v[76:77], v[150:151], s[14:15], v[178:179]
	v_fma_f64 v[86:87], v[150:151], s[0:1], v[189:190]
	v_add_f64 v[146:147], v[193:194], -v[10:11]
	v_add_f64 v[148:149], v[0:1], v[4:5]
	v_add_f64 v[150:151], v[2:3], v[6:7]
	v_add_f64 v[152:153], v[0:1], -v[4:5]
	v_add_f64 v[154:155], v[2:3], -v[6:7]
	;; [unrolled: 1-line block ×4, first 2 shown]
	v_add_f64 v[156:157], v[195:196], v[200:201]
	v_add_f64 v[158:159], v[198:199], v[202:203]
	v_mul_i32_i24_e32 v164, 10, v186
	v_add_f64 v[8:9], v[64:65], v[66:67]
	v_add_f64 v[10:11], v[88:89], v[90:91]
	v_cmp_gt_u32_e64 s0, 45, v180
	v_add_f64 v[0:1], v[72:73], -v[74:75]
	v_add_f64 v[2:3], v[82:83], -v[84:85]
	v_lshl_add_u32 v181, v164, 4, 0
	ds_write_b128 v187, v[104:107] offset:96
	ds_write_b128 v187, v[112:115] offset:112
	;; [unrolled: 1-line block ×4, first 2 shown]
	ds_write_b128 v181, v[92:95]
	ds_write_b128 v181, v[132:135] offset:16
	ds_write_b128 v181, v[140:143] offset:32
	;; [unrolled: 1-line block ×5, first 2 shown]
	v_add_f64 v[4:5], v[70:71], -v[76:77]
	v_add_f64 v[6:7], v[80:81], -v[86:87]
	ds_write_b128 v181, v[136:139] offset:96
	ds_write_b128 v181, v[144:147] offset:112
	;; [unrolled: 1-line block ×4, first 2 shown]
	s_and_saveexec_b32 s1, s0
	s_cbranch_execz .LBB0_15
; %bb.14:
	v_add_f64 v[92:93], v[46:47], v[58:59]
	v_add_f64 v[94:95], v[44:45], v[56:57]
	v_add_f64 v[44:45], v[48:49], -v[44:45]
	v_add_f64 v[48:49], v[52:53], -v[56:57]
	;; [unrolled: 1-line block ×4, first 2 shown]
	v_add_f64 v[56:57], v[20:21], v[24:25]
	v_add_f64 v[14:15], v[14:15], -v[22:23]
	v_add_f64 v[18:19], v[18:19], -v[26:27]
	;; [unrolled: 1-line block ×4, first 2 shown]
	v_fma_f64 v[42:43], v[92:93], -0.5, v[42:43]
	v_fma_f64 v[40:41], v[94:95], -0.5, v[40:41]
	v_add_f64 v[92:93], v[22:23], v[26:27]
	v_add_f64 v[44:45], v[44:45], v[48:49]
	;; [unrolled: 1-line block ×3, first 2 shown]
	v_fma_f64 v[28:29], v[56:57], -0.5, v[28:29]
	v_add_f64 v[14:15], v[14:15], v[18:19]
	v_add_f64 v[12:13], v[12:13], v[16:17]
	v_fma_f64 v[52:53], v[62:63], s[8:9], v[42:43]
	v_fma_f64 v[54:55], v[60:61], s[8:9], v[40:41]
	;; [unrolled: 1-line block ×4, first 2 shown]
	v_fma_f64 v[30:31], v[92:93], -0.5, v[30:31]
	v_fma_f64 v[48:49], v[34:35], s[14:15], v[52:53]
	v_fma_f64 v[50:51], v[32:33], s[14:15], v[54:55]
	;; [unrolled: 1-line block ×16, first 2 shown]
	v_mul_f64 v[20:21], v[24:25], s[6:7]
	v_mul_f64 v[22:23], v[26:27], s[8:9]
	;; [unrolled: 1-line block ×4, first 2 shown]
	v_fma_f64 v[40:41], v[14:15], s[6:7], v[16:17]
	v_fma_f64 v[42:43], v[14:15], s[6:7], v[18:19]
	;; [unrolled: 1-line block ×4, first 2 shown]
	v_add_f64 v[18:19], v[80:81], v[86:87]
	v_add_f64 v[16:17], v[70:71], v[76:77]
	v_add_f64 v[14:15], v[88:89], -v[90:91]
	v_fma_f64 v[32:33], v[32:33], s[8:9], -v[20:21]
	v_fma_f64 v[44:45], v[34:35], s[6:7], v[22:23]
	v_fma_f64 v[28:29], v[26:27], s[6:7], v[36:37]
	v_fma_f64 v[24:25], v[24:25], s[2:3], -v[38:39]
	v_add_f64 v[22:23], v[82:83], v[84:85]
	v_add_f64 v[20:21], v[72:73], v[74:75]
	v_add_f64 v[26:27], v[40:41], -v[32:33]
	v_add_f64 v[38:39], v[42:43], v[44:45]
	v_add_f64 v[36:37], v[12:13], v[28:29]
	;; [unrolled: 1-line block ×4, first 2 shown]
	v_add_f64 v[30:31], v[42:43], -v[44:45]
	v_add_f64 v[28:29], v[12:13], -v[28:29]
	;; [unrolled: 1-line block ×4, first 2 shown]
	v_mul_i32_i24_e32 v40, 10, v228
	v_lshl_add_u32 v40, v40, 4, 0
	ds_write_b128 v40, v[8:11] offset:64
	ds_write_b128 v40, v[0:3] offset:80
	;; [unrolled: 1-line block ×3, first 2 shown]
	ds_write_b128 v40, v[20:23]
	ds_write_b128 v40, v[16:19] offset:16
	ds_write_b128 v40, v[36:39] offset:32
	;; [unrolled: 1-line block ×6, first 2 shown]
.LBB0_15:
	s_or_b32 exec_lo, exec_lo, s1
	v_mad_i32_i24 v12, 0xffffff70, v186, v181
	v_lshl_add_u32 v198, v228, 4, 0
	s_waitcnt lgkmcnt(0)
	s_barrier
	buffer_gl0_inv
	ds_read_b128 v[36:39], v12
	ds_read_b128 v[12:15], v198
	ds_read_b128 v[96:99], v197 offset:13440
	ds_read_b128 v[44:47], v197 offset:14880
	;; [unrolled: 1-line block ×20, first 2 shown]
	ds_read_b128 v[40:43], v197
	ds_read_b128 v[72:75], v197 offset:34080
	v_cmp_gt_u32_e64 s1, 30, v180
	s_and_saveexec_b32 s2, s1
	s_cbranch_execz .LBB0_17
; %bb.16:
	ds_read_b128 v[0:3], v197 offset:23520
	ds_read_b128 v[8:11], v197 offset:11520
	;; [unrolled: 1-line block ×3, first 2 shown]
.LBB0_17:
	s_or_b32 exec_lo, exec_lo, s2
	v_and_b32_e32 v189, 0xff, v186
	v_and_b32_e32 v196, 0xff, v180
	v_mov_b32_e32 v140, 0xcccd
	v_add_nc_u32_e32 v194, 0x168, v180
	v_add_nc_u32_e32 v195, 0x10e, v180
	v_mul_lo_u16 v109, 0xcd, v189
	v_mul_lo_u16 v108, 0xcd, v196
	v_mul_u32_u24_sdwa v110, v228, v140 dst_sel:DWORD dst_unused:UNUSED_PAD src0_sel:WORD_0 src1_sel:DWORD
	v_add_nc_u32_e32 v193, 0x1c2, v180
	v_add_nc_u32_e32 v192, 0x21c, v180
	v_lshrrev_b16 v203, 11, v109
	v_lshrrev_b16 v202, 11, v108
	v_lshrrev_b32_e32 v204, 19, v110
	v_mul_u32_u24_sdwa v110, v195, v140 dst_sel:DWORD dst_unused:UNUSED_PAD src0_sel:WORD_0 src1_sel:DWORD
	v_mul_u32_u24_sdwa v133, v193, v140 dst_sel:DWORD dst_unused:UNUSED_PAD src0_sel:WORD_0 src1_sel:DWORD
	v_mul_lo_u16 v109, v203, 10
	v_mul_u32_u24_sdwa v134, v192, v140 dst_sel:DWORD dst_unused:UNUSED_PAD src0_sel:WORD_0 src1_sel:DWORD
	v_mul_lo_u16 v108, v202, 10
	v_mul_lo_u16 v111, v204, 10
	v_lshrrev_b32_e32 v208, 19, v110
	v_sub_nc_u16 v206, v186, v109
	v_mul_u32_u24_sdwa v109, v194, v140 dst_sel:DWORD dst_unused:UNUSED_PAD src0_sel:WORD_0 src1_sel:DWORD
	v_lshrrev_b32_e32 v211, 19, v133
	v_lshrrev_b32_e32 v212, 19, v134
	v_add_nc_u32_e32 v191, 0x276, v180
	v_mov_b32_e32 v164, 5
	v_lshrrev_b32_e32 v210, 19, v109
	v_sub_nc_u16 v205, v180, v108
	v_sub_nc_u16 v207, v228, v111
	v_mul_lo_u16 v111, v208, 10
	v_mul_lo_u16 v142, v212, 10
	;; [unrolled: 1-line block ×3, first 2 shown]
	v_mul_u32_u24_sdwa v143, v191, v140 dst_sel:DWORD dst_unused:UNUSED_PAD src0_sel:WORD_0 src1_sel:DWORD
	v_lshlrev_b32_sdwa v108, v164, v205 dst_sel:DWORD dst_unused:UNUSED_PAD src0_sel:DWORD src1_sel:BYTE_0
	v_lshlrev_b32_sdwa v132, v164, v207 dst_sel:DWORD dst_unused:UNUSED_PAD src0_sel:DWORD src1_sel:WORD_0
	v_sub_nc_u16 v209, v195, v111
	v_sub_nc_u16 v213, v194, v141
	v_mul_lo_u16 v141, v211, 10
	v_add_nc_u32_e32 v168, 0x2d0, v180
	v_sub_nc_u16 v190, v192, v142
	v_lshrrev_b32_e32 v214, 19, v143
	v_lshlrev_b32_sdwa v110, v164, v206 dst_sel:DWORD dst_unused:UNUSED_PAD src0_sel:DWORD src1_sel:BYTE_0
	v_sub_nc_u16 v188, v193, v141
	s_clause 0x5
	global_load_dwordx4 v[128:131], v108, s[12:13]
	global_load_dwordx4 v[124:127], v108, s[12:13] offset:16
	global_load_dwordx4 v[120:123], v110, s[12:13]
	global_load_dwordx4 v[116:119], v110, s[12:13] offset:16
	global_load_dwordx4 v[112:115], v132, s[12:13]
	global_load_dwordx4 v[108:111], v132, s[12:13] offset:16
	v_lshlrev_b32_sdwa v132, v164, v209 dst_sel:DWORD dst_unused:UNUSED_PAD src0_sel:DWORD src1_sel:WORD_0
	v_lshlrev_b32_sdwa v148, v164, v213 dst_sel:DWORD dst_unused:UNUSED_PAD src0_sel:DWORD src1_sel:WORD_0
	v_mul_u32_u24_sdwa v149, v168, v140 dst_sel:DWORD dst_unused:UNUSED_PAD src0_sel:WORD_0 src1_sel:DWORD
	v_lshlrev_b32_sdwa v150, v164, v188 dst_sel:DWORD dst_unused:UNUSED_PAD src0_sel:DWORD src1_sel:WORD_0
	v_mul_lo_u16 v152, v214, 10
	v_lshlrev_b32_sdwa v153, v164, v190 dst_sel:DWORD dst_unused:UNUSED_PAD src0_sel:DWORD src1_sel:WORD_0
	v_mov_b32_e32 v167, v168
	s_clause 0x3
	global_load_dwordx4 v[136:139], v132, s[12:13]
	global_load_dwordx4 v[132:135], v132, s[12:13] offset:16
	global_load_dwordx4 v[144:147], v148, s[12:13]
	global_load_dwordx4 v[140:143], v148, s[12:13] offset:16
	v_lshrrev_b32_e32 v200, 19, v149
	s_clause 0x1
	global_load_dwordx4 v[156:159], v150, s[12:13]
	global_load_dwordx4 v[148:151], v150, s[12:13] offset:16
	v_sub_nc_u16 v215, v191, v152
	s_clause 0x1
	global_load_dwordx4 v[160:163], v153, s[12:13]
	global_load_dwordx4 v[152:155], v153, s[12:13] offset:16
	buffer_store_dword v167, off, s[28:31], 0 ; 4-byte Folded Spill
	buffer_store_dword v168, off, s[28:31], 0 offset:4 ; 4-byte Folded Spill
	v_mul_lo_u16 v165, v200, 10
	v_mov_b32_e32 v216, 0x1e0
	v_lshlrev_b32_sdwa v166, v164, v215 dst_sel:DWORD dst_unused:UNUSED_PAD src0_sel:DWORD src1_sel:WORD_0
	v_mov_b32_e32 v187, 4
	v_mul_u32_u24_e32 v204, 0x1e0, v204
	v_mul_u32_u24_e32 v208, 0x1e0, v208
	v_mul_u32_u24_sdwa v202, v202, v216 dst_sel:DWORD dst_unused:UNUSED_PAD src0_sel:WORD_0 src1_sel:DWORD
	v_mul_u32_u24_sdwa v203, v203, v216 dst_sel:DWORD dst_unused:UNUSED_PAD src0_sel:WORD_0 src1_sel:DWORD
	v_lshlrev_b32_sdwa v205, v187, v205 dst_sel:DWORD dst_unused:UNUSED_PAD src0_sel:DWORD src1_sel:BYTE_0
	v_lshlrev_b32_sdwa v206, v187, v206 dst_sel:DWORD dst_unused:UNUSED_PAD src0_sel:DWORD src1_sel:BYTE_0
	v_lshlrev_b32_sdwa v207, v187, v207 dst_sel:DWORD dst_unused:UNUSED_PAD src0_sel:DWORD src1_sel:WORD_0
	v_lshlrev_b32_sdwa v209, v187, v209 dst_sel:DWORD dst_unused:UNUSED_PAD src0_sel:DWORD src1_sel:WORD_0
	v_mul_u32_u24_e32 v210, 0x1e0, v210
	v_add3_u32 v222, 0, v202, v205
	v_add3_u32 v223, 0, v203, v206
	v_add3_u32 v224, 0, v204, v207
	v_add3_u32 v225, 0, v208, v209
	v_mul_u32_u24_e32 v211, 0x1e0, v211
	v_mul_u32_u24_e32 v212, 0x1e0, v212
	;; [unrolled: 1-line block ×3, first 2 shown]
	v_lshlrev_b32_sdwa v213, v187, v213 dst_sel:DWORD dst_unused:UNUSED_PAD src0_sel:DWORD src1_sel:WORD_0
	v_lshlrev_b32_sdwa v188, v187, v188 dst_sel:DWORD dst_unused:UNUSED_PAD src0_sel:DWORD src1_sel:WORD_0
	;; [unrolled: 1-line block ×4, first 2 shown]
	s_mov_b32 s2, 0xe8584caa
	v_add3_u32 v226, 0, v210, v213
	v_add3_u32 v188, 0, v211, v188
	;; [unrolled: 1-line block ×4, first 2 shown]
	s_mov_b32 s3, 0x3febb67a
	s_mov_b32 s7, 0xbfebb67a
	;; [unrolled: 1-line block ×3, first 2 shown]
	v_mul_i32_i24_e32 v199, 0xffffff70, v186
	s_waitcnt vmcnt(13) lgkmcnt(5)
	v_mul_f64 v[202:203], v[106:107], v[130:131]
	v_mul_f64 v[130:131], v[104:105], v[130:131]
	s_waitcnt vmcnt(12) lgkmcnt(3)
	v_mul_f64 v[204:205], v[102:103], v[126:127]
	v_mul_f64 v[126:127], v[100:101], v[126:127]
	s_waitcnt vmcnt(11)
	v_mul_f64 v[206:207], v[98:99], v[122:123]
	v_mul_f64 v[122:123], v[96:97], v[122:123]
	s_waitcnt vmcnt(10)
	;; [unrolled: 3-line block ×5, first 2 shown]
	v_mul_f64 v[214:215], v[78:79], v[138:139]
	s_waitcnt vmcnt(6)
	v_mul_f64 v[216:217], v[82:83], v[134:135]
	s_waitcnt vmcnt(5)
	v_mul_f64 v[218:219], v[54:55], v[146:147]
	v_mul_f64 v[146:147], v[52:53], v[146:147]
	s_waitcnt vmcnt(4)
	v_mul_f64 v[220:221], v[58:59], v[142:143]
	v_mul_f64 v[142:143], v[56:57], v[142:143]
	v_sub_nc_u16 v201, v168, v165
	global_load_dwordx4 v[168:171], v166, s[12:13]
	v_mul_f64 v[138:139], v[76:77], v[138:139]
	v_mul_f64 v[134:135], v[80:81], v[134:135]
	v_fma_f64 v[104:105], v[104:105], v[128:129], -v[202:203]
	v_lshlrev_b32_sdwa v176, v164, v201 dst_sel:DWORD dst_unused:UNUSED_PAD src0_sel:DWORD src1_sel:WORD_0
	s_clause 0x2
	global_load_dwordx4 v[164:167], v166, s[12:13] offset:16
	global_load_dwordx4 v[172:175], v176, s[12:13]
	global_load_dwordx4 v[176:179], v176, s[12:13] offset:16
	v_fma_f64 v[106:107], v[106:107], v[128:129], v[130:131]
	s_waitcnt vmcnt(7)
	v_mul_f64 v[128:129], v[86:87], v[158:159]
	v_mul_f64 v[130:131], v[84:85], v[158:159]
	s_waitcnt vmcnt(6)
	v_mul_f64 v[158:159], v[90:91], v[150:151]
	v_mul_f64 v[150:151], v[88:89], v[150:151]
	v_fma_f64 v[100:101], v[100:101], v[124:125], -v[204:205]
	v_fma_f64 v[102:103], v[102:103], v[124:125], v[126:127]
	s_waitcnt vmcnt(5)
	v_mul_f64 v[124:125], v[62:63], v[162:163]
	v_mul_f64 v[126:127], v[60:61], v[162:163]
	s_waitcnt vmcnt(4)
	v_mul_f64 v[162:163], v[66:67], v[154:155]
	v_mul_f64 v[154:155], v[64:65], v[154:155]
	v_fma_f64 v[96:97], v[96:97], v[120:121], -v[206:207]
	v_fma_f64 v[98:99], v[98:99], v[120:121], v[122:123]
	v_fma_f64 v[92:93], v[92:93], v[116:117], -v[208:209]
	v_fma_f64 v[94:95], v[94:95], v[116:117], v[118:119]
	;; [unrolled: 2-line block ×4, first 2 shown]
	v_fma_f64 v[76:77], v[76:77], v[136:137], -v[214:215]
	v_fma_f64 v[80:81], v[80:81], v[132:133], -v[216:217]
	v_fma_f64 v[52:53], v[52:53], v[144:145], -v[218:219]
	v_fma_f64 v[54:55], v[54:55], v[144:145], v[146:147]
	v_fma_f64 v[56:57], v[56:57], v[140:141], -v[220:221]
	v_fma_f64 v[58:59], v[58:59], v[140:141], v[142:143]
	v_fma_f64 v[84:85], v[84:85], v[156:157], -v[128:129]
	;; [unrolled: 2-line block ×5, first 2 shown]
	v_fma_f64 v[66:67], v[66:67], v[152:153], v[154:155]
	v_fma_f64 v[78:79], v[78:79], v[136:137], v[138:139]
	;; [unrolled: 1-line block ×3, first 2 shown]
	v_add_f64 v[110:111], v[96:97], v[92:93]
	s_waitcnt vmcnt(0) lgkmcnt(0)
	s_waitcnt_vscnt null, 0x0
	v_add_f64 v[128:129], v[12:13], v[202:203]
	v_add_f64 v[126:127], v[14:15], v[112:113]
	v_add_f64 v[130:131], v[202:203], -v[114:115]
	v_add_f64 v[124:125], v[112:113], v[108:109]
	v_add_f64 v[138:139], v[24:25], v[76:77]
	;; [unrolled: 1-line block ×3, first 2 shown]
	v_add_f64 v[140:141], v[76:77], -v[80:81]
	v_add_f64 v[144:145], v[18:19], v[54:55]
	v_add_f64 v[76:77], v[52:53], v[56:57]
	;; [unrolled: 1-line block ×4, first 2 shown]
	v_add_f64 v[148:149], v[54:55], -v[58:59]
	v_add_f64 v[150:151], v[52:53], -v[56:57]
	v_add_f64 v[52:53], v[84:85], v[88:89]
	v_add_f64 v[54:55], v[86:87], v[90:91]
	;; [unrolled: 1-line block ×4, first 2 shown]
	v_add_f64 v[156:157], v[86:87], -v[90:91]
	v_add_f64 v[158:159], v[84:85], -v[88:89]
	v_add_f64 v[84:85], v[60:61], v[64:65]
	v_add_f64 v[86:87], v[62:63], v[66:67]
	;; [unrolled: 1-line block ×5, first 2 shown]
	v_add_f64 v[112:113], v[112:113], -v[108:109]
	v_add_f64 v[136:137], v[26:27], v[78:79]
	v_add_f64 v[78:79], v[78:79], -v[82:83]
	s_barrier
	buffer_gl0_inv
	v_mul_f64 v[120:121], v[70:71], v[170:171]
	v_mul_f64 v[122:123], v[68:69], v[170:171]
	;; [unrolled: 1-line block ×8, first 2 shown]
	v_fma_f64 v[68:69], v[68:69], v[168:169], -v[120:121]
	v_fma_f64 v[70:71], v[70:71], v[168:169], v[122:123]
	v_add_f64 v[120:121], v[36:37], v[96:97]
	v_add_f64 v[122:123], v[202:203], v[114:115]
	v_add_f64 v[96:97], v[96:97], -v[92:93]
	v_fma_f64 v[72:73], v[72:73], v[164:165], -v[170:171]
	v_fma_f64 v[74:75], v[74:75], v[164:165], v[166:167]
	v_fma_f64 v[44:45], v[0:1], v[172:173], -v[116:117]
	v_fma_f64 v[50:51], v[2:3], v[172:173], v[118:119]
	;; [unrolled: 2-line block ×3, first 2 shown]
	v_add_f64 v[0:1], v[104:105], v[100:101]
	v_add_f64 v[2:3], v[106:107], v[102:103]
	;; [unrolled: 1-line block ×6, first 2 shown]
	v_add_f64 v[164:165], v[62:63], -v[66:67]
	v_add_f64 v[166:167], v[60:61], -v[64:65]
	;; [unrolled: 1-line block ×4, first 2 shown]
	v_add_f64 v[170:171], v[32:33], v[68:69]
	v_add_f64 v[168:169], v[34:35], v[70:71]
	v_add_f64 v[98:99], v[98:99], -v[94:95]
	v_add_f64 v[60:61], v[68:69], v[72:73]
	v_add_f64 v[62:63], v[70:71], v[74:75]
	v_add_f64 v[172:173], v[70:71], -v[74:75]
	v_add_f64 v[174:175], v[68:69], -v[72:73]
	v_add_f64 v[68:69], v[44:45], v[46:47]
	v_add_f64 v[70:71], v[50:51], v[48:49]
	v_add_f64 v[176:177], v[50:51], -v[48:49]
	v_add_f64 v[178:179], v[44:45], -v[46:47]
	v_fma_f64 v[0:1], v[0:1], -0.5, v[40:41]
	v_fma_f64 v[2:3], v[2:3], -0.5, v[42:43]
	v_add_f64 v[42:43], v[4:5], v[102:103]
	v_add_f64 v[40:41], v[6:7], v[100:101]
	v_fma_f64 v[4:5], v[110:111], -0.5, v[36:37]
	v_fma_f64 v[6:7], v[116:117], -0.5, v[38:39]
	v_add_f64 v[38:39], v[118:119], v[94:95]
	v_add_f64 v[36:37], v[120:121], v[92:93]
	;; [unrolled: 4-line block ×3, first 2 shown]
	v_fma_f64 v[100:101], v[132:133], -0.5, v[24:25]
	v_fma_f64 v[102:103], v[134:135], -0.5, v[26:27]
	;; [unrolled: 1-line block ×10, first 2 shown]
	v_add_f64 v[18:19], v[144:145], v[58:59]
	v_add_f64 v[16:17], v[146:147], v[56:57]
	;; [unrolled: 1-line block ×4, first 2 shown]
	v_fma_f64 v[122:123], v[60:61], -0.5, v[32:33]
	v_fma_f64 v[124:125], v[62:63], -0.5, v[34:35]
	v_fma_f64 v[52:53], v[106:107], s[2:3], v[0:1]
	v_fma_f64 v[56:57], v[106:107], s[6:7], v[0:1]
	;; [unrolled: 1-line block ×10, first 2 shown]
	v_add_f64 v[34:35], v[168:169], v[74:75]
	v_add_f64 v[32:33], v[170:171], v[72:73]
	v_fma_f64 v[0:1], v[176:177], s[2:3], v[126:127]
	v_fma_f64 v[4:5], v[176:177], s[6:7], v[126:127]
	v_fma_f64 v[2:3], v[178:179], s[6:7], v[128:129]
	v_fma_f64 v[6:7], v[178:179], s[2:3], v[128:129]
	v_fma_f64 v[72:73], v[112:113], s[6:7], v[92:93]
	v_fma_f64 v[74:75], v[130:131], s[2:3], v[94:95]
	v_add_f64 v[26:27], v[136:137], v[82:83]
	v_add_f64 v[24:25], v[138:139], v[80:81]
	v_fma_f64 v[76:77], v[78:79], s[2:3], v[100:101]
	v_fma_f64 v[80:81], v[78:79], s[6:7], v[100:101]
	v_fma_f64 v[78:79], v[140:141], s[6:7], v[102:103]
	v_fma_f64 v[82:83], v[140:141], s[2:3], v[102:103]
	v_fma_f64 v[84:85], v[148:149], s[2:3], v[108:109]
	v_fma_f64 v[86:87], v[150:151], s[6:7], v[110:111]
	;; [unrolled: 8-line block ×3, first 2 shown]
	v_fma_f64 v[100:101], v[164:165], s[2:3], v[118:119]
	v_fma_f64 v[102:103], v[166:167], s[6:7], v[120:121]
	v_fma_f64 v[104:105], v[164:165], s[6:7], v[118:119]
	v_fma_f64 v[106:107], v[166:167], s[2:3], v[120:121]
	v_fma_f64 v[108:109], v[172:173], s[2:3], v[122:123]
	v_fma_f64 v[112:113], v[172:173], s[6:7], v[122:123]
	v_fma_f64 v[110:111], v[174:175], s[6:7], v[124:125]
	v_fma_f64 v[114:115], v[174:175], s[2:3], v[124:125]
	ds_write_b128 v222, v[40:43]
	ds_write_b128 v222, v[52:55] offset:160
	ds_write_b128 v222, v[56:59] offset:320
	ds_write_b128 v223, v[36:39]
	ds_write_b128 v223, v[60:63] offset:160
	ds_write_b128 v223, v[64:67] offset:320
	;; [unrolled: 3-line block ×8, first 2 shown]
	s_and_saveexec_b32 s2, s1
	s_cbranch_execz .LBB0_19
; %bb.18:
	v_add_f64 v[10:11], v[10:11], v[50:51]
	v_add_f64 v[8:9], v[8:9], v[44:45]
	v_mul_lo_u16 v12, v200, 30
	v_lshlrev_b32_sdwa v13, v187, v201 dst_sel:DWORD dst_unused:UNUSED_PAD src0_sel:DWORD src1_sel:WORD_0
	v_lshlrev_b32_sdwa v12, v187, v12 dst_sel:DWORD dst_unused:UNUSED_PAD src0_sel:DWORD src1_sel:WORD_0
	v_add3_u32 v12, 0, v13, v12
	v_add_f64 v[10:11], v[10:11], v[48:49]
	v_add_f64 v[8:9], v[8:9], v[46:47]
	ds_write_b128 v12, v[0:3] offset:160
	ds_write_b128 v12, v[8:11]
	ds_write_b128 v12, v[4:7] offset:320
.LBB0_19:
	s_or_b32 exec_lo, exec_lo, s2
	v_mul_lo_u16 v8, 0x89, v196
	v_mov_b32_e32 v12, 6
	s_waitcnt lgkmcnt(0)
	s_barrier
	buffer_gl0_inv
	v_lshrrev_b16 v171, 12, v8
	v_mov_b32_e32 v10, 0x8889
	v_add_nc_u32_e32 v170, v181, v199
	v_mov_b32_e32 v181, 0x960
	s_mov_b32 s14, 0x134454ff
	v_mul_lo_u16 v8, v171, 30
	s_mov_b32 s15, 0x3fee6f0e
	s_mov_b32 s17, 0xbfee6f0e
	v_mul_u32_u24_sdwa v171, v171, v181 dst_sel:DWORD dst_unused:UNUSED_PAD src0_sel:WORD_0 src1_sel:DWORD
	s_mov_b32 s16, s14
	v_sub_nc_u16 v172, v180, v8
	v_mul_lo_u16 v8, 0x89, v189
	s_mov_b32 s6, 0x4755a5e
	s_mov_b32 s7, 0x3fe2cf23
	;; [unrolled: 1-line block ×3, first 2 shown]
	v_lshlrev_b32_sdwa v9, v12, v172 dst_sel:DWORD dst_unused:UNUSED_PAD src0_sel:DWORD src1_sel:BYTE_0
	v_lshrrev_b16 v173, 12, v8
	v_lshlrev_b32_sdwa v172, v187, v172 dst_sel:DWORD dst_unused:UNUSED_PAD src0_sel:DWORD src1_sel:BYTE_0
	s_mov_b32 s8, s6
	s_mov_b32 s2, 0x372fe950
	s_clause 0x1
	global_load_dwordx4 v[40:43], v9, s[12:13] offset:320
	global_load_dwordx4 v[44:47], v9, s[12:13] offset:336
	v_mul_lo_u16 v8, v173, 30
	s_clause 0x1
	global_load_dwordx4 v[48:51], v9, s[12:13] offset:352
	global_load_dwordx4 v[52:55], v9, s[12:13] offset:368
	v_mul_u32_u24_sdwa v173, v173, v181 dst_sel:DWORD dst_unused:UNUSED_PAD src0_sel:WORD_0 src1_sel:DWORD
	v_add3_u32 v181, 0, v171, v172
	v_sub_nc_u16 v174, v186, v8
	v_mul_u32_u24_sdwa v8, v228, v10 dst_sel:DWORD dst_unused:UNUSED_PAD src0_sel:WORD_0 src1_sel:DWORD
	s_mov_b32 s3, 0x3fd3c6ef
	v_lshlrev_b32_sdwa v11, v12, v174 dst_sel:DWORD dst_unused:UNUSED_PAD src0_sel:DWORD src1_sel:BYTE_0
	v_lshrrev_b32_e32 v175, 20, v8
	v_lshlrev_b32_sdwa v171, v187, v174 dst_sel:DWORD dst_unused:UNUSED_PAD src0_sel:DWORD src1_sel:BYTE_0
	global_load_dwordx4 v[56:59], v11, s[12:13] offset:320
	v_mul_lo_u16 v8, v175, 30
	s_clause 0x2
	global_load_dwordx4 v[60:63], v11, s[12:13] offset:336
	global_load_dwordx4 v[64:67], v11, s[12:13] offset:352
	;; [unrolled: 1-line block ×3, first 2 shown]
	v_add3_u32 v172, 0, v173, v171
	v_sub_nc_u16 v176, v228, v8
	v_mul_u32_u24_sdwa v8, v195, v10 dst_sel:DWORD dst_unused:UNUSED_PAD src0_sel:WORD_0 src1_sel:DWORD
	v_mul_u32_u24_sdwa v10, v194, v10 dst_sel:DWORD dst_unused:UNUSED_PAD src0_sel:WORD_0 src1_sel:DWORD
	v_mul_u32_u24_e32 v173, 0x960, v175
	v_lshlrev_b32_sdwa v9, v12, v176 dst_sel:DWORD dst_unused:UNUSED_PAD src0_sel:DWORD src1_sel:WORD_0
	v_lshrrev_b32_e32 v178, 20, v8
	v_lshrrev_b32_e32 v177, 20, v10
	v_lshlrev_b32_sdwa v171, v187, v176 dst_sel:DWORD dst_unused:UNUSED_PAD src0_sel:DWORD src1_sel:WORD_0
	s_clause 0x1
	global_load_dwordx4 v[72:75], v9, s[12:13] offset:320
	global_load_dwordx4 v[76:79], v9, s[12:13] offset:336
	v_mul_lo_u16 v8, v178, 30
	global_load_dwordx4 v[80:83], v9, s[12:13] offset:352
	v_add3_u32 v173, 0, v173, v171
	v_mul_u32_u24_e32 v171, 0x960, v178
	v_sub_nc_u16 v179, v195, v8
	v_mul_lo_u16 v8, v177, 30
	v_lshlrev_b32_sdwa v13, v12, v179 dst_sel:DWORD dst_unused:UNUSED_PAD src0_sel:DWORD src1_sel:WORD_0
	s_clause 0x1
	global_load_dwordx4 v[84:87], v9, s[12:13] offset:368
	global_load_dwordx4 v[88:91], v13, s[12:13] offset:320
	v_sub_nc_u16 v189, v194, v8
	s_clause 0x1
	global_load_dwordx4 v[20:23], v13, s[12:13] offset:336
	global_load_dwordx4 v[8:11], v13, s[12:13] offset:352
	v_lshlrev_b32_sdwa v174, v187, v179 dst_sel:DWORD dst_unused:UNUSED_PAD src0_sel:DWORD src1_sel:WORD_0
	v_lshlrev_b32_sdwa v12, v12, v189 dst_sel:DWORD dst_unused:UNUSED_PAD src0_sel:DWORD src1_sel:WORD_0
	s_clause 0x4
	global_load_dwordx4 v[16:19], v13, s[12:13] offset:368
	global_load_dwordx4 v[36:39], v12, s[12:13] offset:320
	;; [unrolled: 1-line block ×5, first 2 shown]
	ds_read_b128 v[92:95], v197 offset:7200
	ds_read_b128 v[96:99], v197 offset:14400
	;; [unrolled: 1-line block ×14, first 2 shown]
	v_lshlrev_b32_sdwa v176, v187, v189 dst_sel:DWORD dst_unused:UNUSED_PAD src0_sel:DWORD src1_sel:WORD_0
	v_add3_u32 v171, 0, v171, v174
	v_mul_u32_u24_e32 v174, 0x960, v177
	v_add3_u32 v187, 0, v174, v176
	s_waitcnt vmcnt(19) lgkmcnt(13)
	v_mul_f64 v[132:133], v[94:95], v[42:43]
	v_mul_f64 v[42:43], v[92:93], v[42:43]
	s_waitcnt vmcnt(18) lgkmcnt(12)
	v_mul_f64 v[134:135], v[98:99], v[46:47]
	s_waitcnt vmcnt(17) lgkmcnt(11)
	v_mul_f64 v[148:149], v[102:103], v[50:51]
	v_mul_f64 v[50:51], v[100:101], v[50:51]
	;; [unrolled: 1-line block ×3, first 2 shown]
	s_waitcnt vmcnt(16) lgkmcnt(10)
	v_mul_f64 v[152:153], v[106:107], v[54:55]
	v_mul_f64 v[54:55], v[104:105], v[54:55]
	s_waitcnt vmcnt(15) lgkmcnt(9)
	v_mul_f64 v[154:155], v[110:111], v[58:59]
	v_mul_f64 v[58:59], v[108:109], v[58:59]
	v_fma_f64 v[132:133], v[92:93], v[40:41], -v[132:133]
	v_fma_f64 v[158:159], v[94:95], v[40:41], v[42:43]
	s_waitcnt vmcnt(14) lgkmcnt(8)
	v_mul_f64 v[40:41], v[114:115], v[62:63]
	v_mul_f64 v[42:43], v[112:113], v[62:63]
	v_fma_f64 v[164:165], v[100:101], v[48:49], -v[148:149]
	v_fma_f64 v[166:167], v[102:103], v[48:49], v[50:51]
	;; [unrolled: 5-line block ×3, first 2 shown]
	ds_read_b128 v[96:99], v197 offset:11520
	v_mul_f64 v[134:135], v[118:119], v[66:67]
	v_mul_f64 v[66:67], v[116:117], v[66:67]
	v_fma_f64 v[168:169], v[104:105], v[52:53], -v[152:153]
	v_fma_f64 v[106:107], v[106:107], v[52:53], v[54:55]
	ds_read_b128 v[52:55], v197 offset:33120
	s_waitcnt vmcnt(11) lgkmcnt(5)
	v_mul_f64 v[70:71], v[130:131], v[74:75]
	v_mul_f64 v[74:75], v[128:129], v[74:75]
	v_fma_f64 v[44:45], v[108:109], v[56:57], -v[154:155]
	s_waitcnt vmcnt(10) lgkmcnt(4)
	v_mul_f64 v[102:103], v[138:139], v[78:79]
	v_mul_f64 v[78:79], v[136:137], v[78:79]
	s_waitcnt vmcnt(9) lgkmcnt(3)
	v_mul_f64 v[108:109], v[142:143], v[82:83]
	ds_read_b128 v[92:95], v197 offset:18720
	ds_read_b128 v[148:151], v197 offset:25920
	v_fma_f64 v[104:105], v[112:113], v[60:61], -v[40:41]
	v_fma_f64 v[100:101], v[114:115], v[60:61], v[42:43]
	ds_read_b128 v[60:63], v197 offset:27360
	v_fma_f64 v[46:47], v[110:111], v[56:57], v[58:59]
	v_fma_f64 v[40:41], v[120:121], v[68:69], -v[48:49]
	v_fma_f64 v[42:43], v[122:123], v[68:69], v[50:51]
	s_waitcnt vmcnt(8) lgkmcnt(5)
	v_mul_f64 v[68:69], v[146:147], v[86:87]
	v_mul_f64 v[86:87], v[144:145], v[86:87]
	s_waitcnt vmcnt(7) lgkmcnt(4)
	v_mul_f64 v[114:115], v[98:99], v[90:91]
	v_mul_f64 v[90:91], v[96:97], v[90:91]
	ds_read_b128 v[56:59], v197 offset:12960
	v_fma_f64 v[152:153], v[116:117], v[64:65], -v[134:135]
	v_fma_f64 v[134:135], v[118:119], v[64:65], v[66:67]
	ds_read_b128 v[64:67], v197 offset:34560
	ds_read_b128 v[110:113], v197
	v_mul_f64 v[82:83], v[140:141], v[82:83]
	v_fma_f64 v[48:49], v[128:129], v[72:73], -v[70:71]
	v_fma_f64 v[50:51], v[130:131], v[72:73], v[74:75]
	v_fma_f64 v[200:201], v[136:137], v[76:77], -v[102:103]
	s_waitcnt vmcnt(6) lgkmcnt(5)
	v_mul_f64 v[72:73], v[94:95], v[22:23]
	v_mul_f64 v[74:75], v[92:93], v[22:23]
	s_waitcnt vmcnt(5) lgkmcnt(4)
	v_mul_f64 v[116:117], v[150:151], v[10:11]
	v_mul_f64 v[10:11], v[148:149], v[10:11]
	v_fma_f64 v[202:203], v[138:139], v[76:77], v[78:79]
	s_waitcnt vmcnt(4)
	v_mul_f64 v[76:77], v[54:55], v[18:19]
	v_mul_f64 v[78:79], v[52:53], v[18:19]
	v_fma_f64 v[204:205], v[140:141], v[80:81], -v[108:109]
	s_waitcnt vmcnt(2)
	v_mul_f64 v[108:109], v[126:127], v[34:35]
	v_mul_f64 v[34:35], v[124:125], v[34:35]
	s_waitcnt vmcnt(1) lgkmcnt(3)
	v_mul_f64 v[118:119], v[62:63], v[30:31]
	v_mul_f64 v[120:121], v[60:61], v[30:31]
	s_waitcnt lgkmcnt(2)
	v_mul_f64 v[102:103], v[58:59], v[38:39]
	v_mul_f64 v[38:39], v[56:57], v[38:39]
	v_fma_f64 v[18:19], v[144:145], v[84:85], -v[68:69]
	v_fma_f64 v[22:23], v[146:147], v[84:85], v[86:87]
	s_waitcnt vmcnt(0) lgkmcnt(1)
	v_mul_f64 v[84:85], v[66:67], v[26:27]
	v_mul_f64 v[86:87], v[64:65], v[26:27]
	v_fma_f64 v[26:27], v[96:97], v[88:89], -v[114:115]
	v_fma_f64 v[30:31], v[98:99], v[88:89], v[90:91]
	s_waitcnt lgkmcnt(0)
	v_add_f64 v[88:89], v[110:111], v[132:133]
	v_fma_f64 v[206:207], v[142:143], v[80:81], v[82:83]
	v_add_f64 v[96:97], v[112:113], v[158:159]
	v_fma_f64 v[208:209], v[92:93], v[20:21], -v[72:73]
	v_fma_f64 v[136:137], v[94:95], v[20:21], v[74:75]
	v_fma_f64 v[210:211], v[148:149], v[8:9], -v[116:117]
	v_fma_f64 v[130:131], v[150:151], v[8:9], v[10:11]
	;; [unrolled: 2-line block ×3, first 2 shown]
	v_add_f64 v[16:17], v[162:163], v[166:167]
	v_fma_f64 v[150:151], v[124:125], v[32:33], -v[108:109]
	v_fma_f64 v[148:149], v[126:127], v[32:33], v[34:35]
	v_fma_f64 v[108:109], v[60:61], v[28:29], -v[118:119]
	v_add_f64 v[20:21], v[158:159], v[106:107]
	v_fma_f64 v[144:145], v[56:57], v[36:37], -v[102:103]
	v_fma_f64 v[146:147], v[58:59], v[36:37], v[38:39]
	v_fma_f64 v[102:103], v[62:63], v[28:29], v[120:121]
	v_add_f64 v[8:9], v[160:161], v[164:165]
	v_fma_f64 v[76:77], v[64:65], v[24:25], -v[84:85]
	v_fma_f64 v[78:79], v[66:67], v[24:25], v[86:87]
	v_add_f64 v[32:33], v[104:105], v[152:153]
	v_add_f64 v[34:35], v[44:45], v[40:41]
	;; [unrolled: 1-line block ×6, first 2 shown]
	v_add_f64 v[52:53], v[132:133], -v[160:161]
	v_add_f64 v[54:55], v[168:169], -v[164:165]
	;; [unrolled: 1-line block ×4, first 2 shown]
	v_add_f64 v[86:87], v[200:201], v[204:205]
	v_add_f64 v[94:95], v[48:49], v[18:19]
	;; [unrolled: 1-line block ×3, first 2 shown]
	v_fma_f64 v[140:141], v[16:17], -0.5, v[112:113]
	v_add_f64 v[214:215], v[150:151], v[108:109]
	v_fma_f64 v[126:127], v[20:21], -0.5, v[112:113]
	ds_read_b128 v[68:71], v198
	ds_read_b128 v[154:157], v197 offset:4320
	ds_read_b128 v[90:93], v170
	v_add_f64 v[16:17], v[148:149], v[102:103]
	v_add_f64 v[216:217], v[144:145], v[76:77]
	;; [unrolled: 1-line block ×4, first 2 shown]
	v_add_f64 v[56:57], v[158:159], -v[162:163]
	v_add_f64 v[24:25], v[24:25], v[164:165]
	v_add_f64 v[164:165], v[30:31], v[82:83]
	v_add_f64 v[58:59], v[106:107], -v[166:167]
	v_add_f64 v[72:73], v[132:133], -v[168:169]
	v_add_f64 v[28:29], v[28:29], v[166:167]
	v_fma_f64 v[138:139], v[8:9], -0.5, v[110:111]
	v_add_f64 v[62:63], v[160:161], -v[132:133]
	v_add_f64 v[60:61], v[162:163], -v[158:159]
	;; [unrolled: 1-line block ×3, first 2 shown]
	v_add_f64 v[98:99], v[50:51], v[22:23]
	v_add_f64 v[74:75], v[158:159], -v[106:107]
	v_add_f64 v[158:159], v[208:209], v[210:211]
	s_waitcnt lgkmcnt(2)
	v_fma_f64 v[118:119], v[86:87], -0.5, v[68:69]
	v_fma_f64 v[116:117], v[94:95], -0.5, v[68:69]
	s_waitcnt lgkmcnt(0)
	v_add_f64 v[142:143], v[90:91], v[44:45]
	v_add_f64 v[212:213], v[92:93], v[46:47]
	v_fma_f64 v[128:129], v[32:33], -0.5, v[90:91]
	v_fma_f64 v[124:125], v[34:35], -0.5, v[90:91]
	;; [unrolled: 1-line block ×4, first 2 shown]
	v_add_f64 v[34:35], v[44:45], -v[104:105]
	v_add_f64 v[36:37], v[104:105], -v[44:45]
	v_add_f64 v[8:9], v[24:25], v[168:169]
	v_add_f64 v[38:39], v[40:41], -v[152:153]
	v_fma_f64 v[114:115], v[96:97], -0.5, v[70:71]
	v_fma_f64 v[96:97], v[164:165], -0.5, v[156:157]
	v_add_f64 v[168:169], v[12:13], v[144:145]
	v_fma_f64 v[94:95], v[214:215], -0.5, v[12:13]
	v_fma_f64 v[92:93], v[216:217], -0.5, v[12:13]
	;; [unrolled: 1-line block ×4, first 2 shown]
	v_add_f64 v[164:165], v[14:15], v[146:147]
	v_add_f64 v[14:15], v[152:153], -v[40:41]
	v_add_f64 v[12:13], v[52:53], v[54:55]
	v_add_f64 v[16:17], v[46:47], -v[100:101]
	v_add_f64 v[20:21], v[100:101], -v[46:47]
	;; [unrolled: 1-line block ×4, first 2 shown]
	v_fma_f64 v[132:133], v[10:11], -0.5, v[110:111]
	v_add_f64 v[10:11], v[28:29], v[106:107]
	v_add_f64 v[28:29], v[56:57], v[58:59]
	v_add_f64 v[56:57], v[48:49], -v[200:201]
	v_add_f64 v[58:59], v[200:201], -v[48:49]
	v_add_f64 v[32:33], v[60:61], v[66:67]
	v_add_f64 v[60:61], v[210:211], -v[80:81]
	v_add_f64 v[34:35], v[34:35], v[38:39]
	v_add_f64 v[24:25], v[62:63], v[64:65]
	v_add_f64 v[62:63], v[82:83], -v[130:131]
	v_add_f64 v[64:65], v[130:131], -v[82:83]
	;; [unrolled: 1-line block ×3, first 2 shown]
	v_add_f64 v[218:219], v[68:69], v[48:49]
	v_add_f64 v[68:69], v[108:109], -v[76:77]
	v_add_f64 v[160:161], v[26:27], v[80:81]
	v_fma_f64 v[112:113], v[98:99], -0.5, v[70:71]
	v_add_f64 v[36:37], v[36:37], v[14:15]
	v_add_f64 v[14:15], v[18:19], -v[204:205]
	v_add_f64 v[220:221], v[70:71], v[50:51]
	v_add_f64 v[70:71], v[78:79], -v[102:103]
	v_add_f64 v[38:39], v[16:17], v[52:53]
	v_add_f64 v[52:53], v[20:21], v[54:55]
	v_add_f64 v[20:21], v[50:51], -v[202:203]
	v_add_f64 v[54:55], v[22:23], -v[206:207]
	;; [unrolled: 1-line block ×3, first 2 shown]
	v_add_f64 v[222:223], v[154:155], v[26:27]
	v_fma_f64 v[110:111], v[158:159], -0.5, v[154:155]
	v_add_f64 v[88:89], v[162:163], -v[166:167]
	v_add_f64 v[162:163], v[136:137], v[130:131]
	v_add_f64 v[166:167], v[156:157], v[30:31]
	;; [unrolled: 1-line block ×4, first 2 shown]
	v_add_f64 v[176:177], v[46:47], -v[42:43]
	v_add_f64 v[174:175], v[44:45], -v[40:41]
	;; [unrolled: 1-line block ×3, first 2 shown]
	v_fma_f64 v[106:107], v[160:161], -0.5, v[154:155]
	v_add_f64 v[154:155], v[102:103], -v[78:79]
	s_barrier
	v_add_f64 v[14:15], v[56:57], v[14:15]
	v_add_f64 v[56:57], v[206:207], -v[22:23]
	buffer_gl0_inv
	ds_write_b128 v181, v[8:11]
	v_add_f64 v[20:21], v[20:21], v[54:55]
	v_add_f64 v[54:55], v[202:203], -v[50:51]
	v_add_f64 v[16:17], v[58:59], v[16:17]
	v_add_f64 v[58:59], v[80:81], -v[210:211]
	v_fma_f64 v[98:99], v[162:163], -0.5, v[156:157]
	v_add_f64 v[166:167], v[166:167], v[136:137]
	v_add_f64 v[54:55], v[54:55], v[56:57]
	v_add_f64 v[56:57], v[26:27], -v[208:209]
	v_add_f64 v[56:57], v[56:57], v[58:59]
	v_add_f64 v[58:59], v[208:209], -v[26:27]
	v_add_f64 v[26:27], v[26:27], -v[80:81]
	v_add_f64 v[58:59], v[58:59], v[60:61]
	v_add_f64 v[60:61], v[30:31], -v[136:137]
	v_add_f64 v[60:61], v[60:61], v[62:63]
	v_add_f64 v[62:63], v[136:137], -v[30:31]
	v_add_f64 v[136:137], v[136:137], -v[130:131]
	v_add_f64 v[30:31], v[30:31], -v[82:83]
	v_add_f64 v[62:63], v[62:63], v[64:65]
	v_add_f64 v[64:65], v[144:145], -v[150:151]
	v_add_f64 v[64:65], v[64:65], v[66:67]
	v_add_f64 v[66:67], v[150:151], -v[144:145]
	v_add_f64 v[150:151], v[150:151], -v[108:109]
	v_add_f64 v[108:109], v[168:169], v[108:109]
	v_add_f64 v[144:145], v[144:145], -v[76:77]
	v_add_f64 v[66:67], v[66:67], v[68:69]
	;; [unrolled: 2-line block ×3, first 2 shown]
	v_add_f64 v[68:69], v[68:69], v[70:71]
	v_add_f64 v[70:71], v[148:149], -v[146:147]
	v_add_f64 v[148:149], v[148:149], -v[102:103]
	v_add_f64 v[102:103], v[164:165], v[102:103]
	v_fma_f64 v[164:165], v[88:89], s[16:17], v[132:133]
	v_fma_f64 v[132:133], v[88:89], s[14:15], v[132:133]
	v_add_f64 v[146:147], v[146:147], -v[78:79]
	v_add_f64 v[70:71], v[70:71], v[154:155]
	v_add_f64 v[154:155], v[142:143], v[104:105]
	v_add_f64 v[142:143], v[104:105], -v[152:153]
	v_add_f64 v[104:105], v[212:213], v[100:101]
	v_add_f64 v[78:79], v[102:103], v[78:79]
	v_fma_f64 v[132:133], v[74:75], s[8:9], v[132:133]
	v_add_f64 v[158:159], v[154:155], v[152:153]
	v_add_f64 v[152:153], v[100:101], -v[134:135]
	v_add_f64 v[100:101], v[218:219], v[200:201]
	v_add_f64 v[154:155], v[222:223], v[208:209]
	;; [unrolled: 1-line block ×3, first 2 shown]
	v_add_f64 v[104:105], v[200:201], -v[204:205]
	v_add_f64 v[199:200], v[50:51], -v[22:23]
	v_add_f64 v[50:51], v[166:167], v[130:131]
	v_add_f64 v[134:135], v[202:203], -v[206:207]
	v_fma_f64 v[130:131], v[74:75], s[14:15], v[138:139]
	v_fma_f64 v[138:139], v[74:75], s[16:17], v[138:139]
	;; [unrolled: 1-line block ×4, first 2 shown]
	v_add_f64 v[40:41], v[158:159], v[40:41]
	v_fma_f64 v[158:159], v[84:85], s[14:15], v[126:127]
	v_add_f64 v[156:157], v[100:101], v[204:205]
	v_add_f64 v[100:101], v[220:221], v[202:203]
	;; [unrolled: 1-line block ×3, first 2 shown]
	v_fma_f64 v[126:127], v[84:85], s[16:17], v[126:127]
	v_add_f64 v[42:43], v[162:163], v[42:43]
	v_fma_f64 v[162:163], v[176:177], s[14:15], v[128:129]
	v_fma_f64 v[128:129], v[176:177], s[16:17], v[128:129]
	v_add_f64 v[50:51], v[50:51], v[82:83]
	v_fma_f64 v[82:83], v[142:143], s[16:17], v[120:121]
	v_fma_f64 v[102:103], v[134:135], s[16:17], v[116:117]
	;; [unrolled: 1-line block ×10, first 2 shown]
	v_add_f64 v[44:45], v[156:157], v[18:19]
	v_add_f64 v[160:161], v[100:101], v[206:207]
	v_add_f64 v[100:101], v[208:209], -v[210:211]
	v_add_f64 v[48:49], v[154:155], v[80:81]
	v_fma_f64 v[80:81], v[142:143], s[14:15], v[120:121]
	v_fma_f64 v[18:19], v[152:153], s[16:17], v[124:125]
	;; [unrolled: 1-line block ×19, first 2 shown]
	v_add_f64 v[46:47], v[160:161], v[22:23]
	v_fma_f64 v[22:23], v[152:153], s[14:15], v[124:125]
	v_fma_f64 v[124:125], v[174:175], s[16:17], v[122:123]
	;; [unrolled: 1-line block ×80, first 2 shown]
	ds_write_b128 v181, v[72:75] offset:480
	ds_write_b128 v181, v[22:25] offset:960
	ds_write_b128 v181, v[30:33] offset:1440
	ds_write_b128 v181, v[26:29] offset:1920
	ds_write_b128 v172, v[40:43]
	ds_write_b128 v172, v[80:83] offset:480
	ds_write_b128 v172, v[84:87] offset:960
	ds_write_b128 v172, v[88:91] offset:1440
	ds_write_b128 v172, v[34:37] offset:1920
	ds_write_b128 v173, v[44:47]
	;; [unrolled: 5-line block ×4, first 2 shown]
	ds_write_b128 v187, v[60:63] offset:480
	ds_write_b128 v187, v[64:67] offset:960
	;; [unrolled: 1-line block ×4, first 2 shown]
	s_waitcnt lgkmcnt(0)
	s_barrier
	buffer_gl0_inv
	ds_read_b128 v[20:23], v170
	ds_read_b128 v[32:35], v198
	ds_read_b128 v[68:71], v197 offset:13440
	ds_read_b128 v[84:87], v197 offset:14880
	;; [unrolled: 1-line block ×20, first 2 shown]
	ds_read_b128 v[40:43], v197
	ds_read_b128 v[64:67], v197 offset:34080
	s_and_saveexec_b32 s2, s1
	s_cbranch_execz .LBB0_21
; %bb.20:
	ds_read_b128 v[0:3], v197 offset:23520
	ds_read_b128 v[8:11], v197 offset:11520
	;; [unrolled: 1-line block ×3, first 2 shown]
.LBB0_21:
	s_or_b32 exec_lo, exec_lo, s2
	v_lshlrev_b32_e32 v139, 1, v180
	v_subrev_nc_u32_e32 v108, 60, v180
	v_mov_b32_e32 v140, 0
	v_cmp_gt_u32_e64 s2, 60, v180
	v_lshrrev_b16 v116, 1, v195
	v_mov_b32_e32 v141, 0xda75
	v_lshrrev_b16 v127, 1, v194
	v_mov_b32_e32 v111, v140
	v_cndmask_b32_e64 v142, v108, v186, s2
	v_lshlrev_b64 v[108:109], 4, v[139:140]
	v_mul_u32_u24_sdwa v116, v116, v141 dst_sel:DWORD dst_unused:UNUSED_PAD src0_sel:WORD_0 src1_sel:DWORD
	v_add_nc_u32_e32 v139, 60, v139
	v_mov_b32_e32 v152, 5
	v_lshlrev_b32_e32 v110, 1, v142
	v_lshrrev_b16 v154, 1, v191
	v_add_co_u32 v112, s2, s12, v108
	v_add_co_ci_u32_e64 v113, s2, s13, v109, s2
	v_lshlrev_b64 v[108:109], 4, v[110:111]
	v_add_co_u32 v110, s2, 0x8c0, v112
	v_add_co_ci_u32_e64 v111, s2, 0, v113, s2
	v_add_co_u32 v112, s2, 0x800, v112
	v_add_co_ci_u32_e64 v113, s2, 0, v113, s2
	v_add_co_u32 v114, s2, s12, v108
	v_lshrrev_b32_e32 v143, 22, v116
	v_add_co_ci_u32_e64 v115, s2, s13, v109, s2
	v_add_co_u32 v108, s2, 0x8c0, v114
	v_lshlrev_b64 v[124:125], 4, v[139:140]
	v_mul_lo_u16 v126, 0x96, v143
	v_add_co_ci_u32_e64 v109, s2, 0, v115, s2
	v_add_co_u32 v114, s2, 0x800, v114
	v_add_co_ci_u32_e64 v115, s2, 0, v115, s2
	v_sub_nc_u16 v179, v195, v126
	v_mul_u32_u24_sdwa v126, v127, v141 dst_sel:DWORD dst_unused:UNUSED_PAD src0_sel:WORD_0 src1_sel:DWORD
	v_add_co_u32 v128, s2, s12, v124
	v_add_co_ci_u32_e64 v129, s2, s13, v125, s2
	v_lshrrev_b32_e32 v131, 22, v126
	v_add_co_u32 v124, s2, 0x8c0, v128
	v_lshlrev_b32_sdwa v130, v152, v179 dst_sel:DWORD dst_unused:UNUSED_PAD src0_sel:DWORD src1_sel:WORD_0
	v_add_co_ci_u32_e64 v125, s2, 0, v129, s2
	v_add_co_u32 v126, s2, 0x800, v128
	v_mul_lo_u16 v128, 0x96, v131
	v_add_co_ci_u32_e64 v127, s2, 0, v129, s2
	v_add_co_u32 v129, s2, s12, v130
	v_add_co_ci_u32_e64 v130, null, s13, 0, s2
	v_sub_nc_u16 v128, v194, v128
	v_lshrrev_b16 v131, 1, v193
	v_add_co_u32 v144, s2, 0x8c0, v129
	v_add_co_ci_u32_e64 v145, s2, 0, v130, s2
	v_and_b32_e32 v181, 0xffff, v128
	v_add_co_u32 v128, s2, 0x800, v129
	v_mul_u32_u24_sdwa v131, v131, v141 dst_sel:DWORD dst_unused:UNUSED_PAD src0_sel:WORD_0 src1_sel:DWORD
	v_add_co_ci_u32_e64 v129, s2, 0, v130, s2
	s_clause 0x3
	global_load_dwordx4 v[120:123], v[112:113], off offset:192
	global_load_dwordx4 v[116:119], v[110:111], off offset:16
	;; [unrolled: 1-line block ×4, first 2 shown]
	v_lshrrev_b32_e32 v146, 22, v131
	s_clause 0x3
	global_load_dwordx4 v[136:139], v[126:127], off offset:192
	global_load_dwordx4 v[132:135], v[124:125], off offset:16
	;; [unrolled: 1-line block ×4, first 2 shown]
	v_lshrrev_b16 v145, 1, v192
	v_lshlrev_b32_e32 v147, 5, v181
	v_mul_lo_u16 v144, 0x96, v146
	v_lshlrev_b32_e32 v142, 4, v142
	v_mul_u32_u24_e32 v143, 0x1c20, v143
	v_mul_u32_u24_sdwa v149, v145, v141 dst_sel:DWORD dst_unused:UNUSED_PAD src0_sel:WORD_0 src1_sel:DWORD
	v_add_co_u32 v146, s2, s12, v147
	v_sub_nc_u16 v148, v193, v144
	v_add_co_ci_u32_e64 v147, null, s13, 0, s2
	v_lshrrev_b32_e32 v188, 22, v149
	v_add_co_u32 v144, s2, 0x800, v146
	v_and_b32_e32 v187, 0xffff, v148
	v_add_co_ci_u32_e64 v145, s2, 0, v147, s2
	v_mul_lo_u16 v153, 0x96, v188
	v_add_co_u32 v148, s2, 0x8c0, v146
	v_lshlrev_b32_e32 v155, 5, v187
	v_add_co_ci_u32_e64 v149, s2, 0, v147, s2
	v_sub_nc_u16 v189, v192, v153
	v_mul_u32_u24_sdwa v153, v154, v141 dst_sel:DWORD dst_unused:UNUSED_PAD src0_sel:WORD_0 src1_sel:DWORD
	v_add_co_u32 v154, s2, s12, v155
	v_add_co_ci_u32_e64 v155, null, s13, 0, s2
	v_lshrrev_b32_e32 v153, 22, v153
	v_lshlrev_b32_sdwa v152, v152, v189 dst_sel:DWORD dst_unused:UNUSED_PAD src0_sel:DWORD src1_sel:WORD_0
	v_add_co_u32 v164, s2, 0x8c0, v154
	v_add_co_ci_u32_e64 v165, s2, 0, v155, s2
	v_mul_lo_u16 v153, 0x96, v153
	v_add_co_u32 v152, s2, s12, v152
	v_add_co_ci_u32_e64 v158, null, s13, 0, s2
	v_sub_nc_u16 v153, v191, v153
	v_add_co_u32 v156, s2, 0x8c0, v152
	v_add_co_ci_u32_e64 v157, s2, 0, v158, s2
	v_and_b32_e32 v190, 0xffff, v153
	v_add_co_u32 v152, s2, 0x800, v152
	v_add_co_ci_u32_e64 v153, s2, 0, v158, s2
	v_lshlrev_b32_e32 v162, 5, v190
	v_add_co_u32 v160, s2, 0x800, v154
	v_add_co_ci_u32_e64 v161, s2, 0, v155, s2
	v_add_co_u32 v166, s2, s12, v162
	v_add_co_ci_u32_e64 v167, null, s13, 0, s2
	s_clause 0x1
	global_load_dwordx4 v[144:147], v[144:145], off offset:192
	global_load_dwordx4 v[148:151], v[148:149], off offset:16
	v_add_co_u32 v168, s2, 0x800, v166
	v_add_co_ci_u32_e64 v169, s2, 0, v167, s2
	v_add_co_u32 v175, s2, 0x8c0, v166
	v_add_co_ci_u32_e64 v176, s2, 0, v167, s2
	s_clause 0x5
	global_load_dwordx4 v[152:155], v[152:153], off offset:192
	global_load_dwordx4 v[156:159], v[156:157], off offset:16
	;; [unrolled: 1-line block ×6, first 2 shown]
	v_mov_b32_e32 v168, 4
	v_cmp_lt_u32_e64 s2, 59, v180
	v_mul_u32_u24_e32 v188, 0x1c20, v188
	s_mov_b32 s6, 0xe8584caa
	s_mov_b32 s7, 0x3febb67a
	v_lshlrev_b32_sdwa v179, v168, v179 dst_sel:DWORD dst_unused:UNUSED_PAD src0_sel:DWORD src1_sel:WORD_0
	v_cndmask_b32_e64 v169, 0, 0x1c20, s2
	v_lshlrev_b32_sdwa v168, v168, v189 dst_sel:DWORD dst_unused:UNUSED_PAD src0_sel:DWORD src1_sel:WORD_0
	s_mov_b32 s3, 0xbfebb67a
	s_mov_b32 s2, s6
	v_add3_u32 v179, 0, v143, v179
	v_add3_u32 v189, 0, v169, v142
	;; [unrolled: 1-line block ×3, first 2 shown]
	s_waitcnt vmcnt(0) lgkmcnt(0)
	s_barrier
	buffer_gl0_inv
	v_lshl_add_u32 v181, v181, 4, 0
	v_lshl_add_u32 v187, v187, 4, 0
	;; [unrolled: 1-line block ×3, first 2 shown]
	v_mul_f64 v[142:143], v[102:103], v[122:123]
	v_mul_f64 v[122:123], v[100:101], v[122:123]
	v_mul_f64 v[168:169], v[106:107], v[118:119]
	v_mul_f64 v[118:119], v[104:105], v[118:119]
	v_mul_f64 v[199:200], v[86:87], v[138:139]
	v_mul_f64 v[201:202], v[90:91], v[134:135]
	v_mul_f64 v[203:204], v[70:71], v[114:115]
	v_mul_f64 v[114:115], v[68:69], v[114:115]
	v_mul_f64 v[205:206], v[74:75], v[110:111]
	v_mul_f64 v[110:111], v[72:73], v[110:111]
	v_mul_f64 v[138:139], v[84:85], v[138:139]
	v_mul_f64 v[134:135], v[88:89], v[134:135]
	v_mul_f64 v[207:208], v[78:79], v[130:131]
	v_mul_f64 v[130:131], v[76:77], v[130:131]
	v_mul_f64 v[209:210], v[82:83], v[126:127]
	v_mul_f64 v[126:127], v[80:81], v[126:127]
	v_fma_f64 v[100:101], v[100:101], v[120:121], -v[142:143]
	v_fma_f64 v[102:103], v[102:103], v[120:121], v[122:123]
	v_fma_f64 v[104:105], v[104:105], v[116:117], -v[168:169]
	v_fma_f64 v[106:107], v[106:107], v[116:117], v[118:119]
	v_fma_f64 v[84:85], v[84:85], v[136:137], -v[199:200]
	v_fma_f64 v[88:89], v[88:89], v[132:133], -v[201:202]
	v_fma_f64 v[68:69], v[68:69], v[112:113], -v[203:204]
	v_fma_f64 v[70:71], v[70:71], v[112:113], v[114:115]
	v_fma_f64 v[72:73], v[72:73], v[108:109], -v[205:206]
	v_fma_f64 v[74:75], v[74:75], v[108:109], v[110:111]
	v_fma_f64 v[86:87], v[86:87], v[136:137], v[138:139]
	v_fma_f64 v[90:91], v[90:91], v[132:133], v[134:135]
	v_fma_f64 v[76:77], v[76:77], v[128:129], -v[207:208]
	v_fma_f64 v[78:79], v[78:79], v[128:129], v[130:131]
	v_fma_f64 v[80:81], v[80:81], v[124:125], -v[209:210]
	v_fma_f64 v[82:83], v[82:83], v[124:125], v[126:127]
	v_add_f64 v[108:109], v[40:41], v[100:101]
	v_add_f64 v[114:115], v[42:43], v[102:103]
	v_add_f64 v[110:111], v[100:101], v[104:105]
	v_add_f64 v[112:113], v[102:103], -v[106:107]
	v_add_f64 v[102:103], v[102:103], v[106:107]
	v_add_f64 v[100:101], v[100:101], -v[104:105]
	v_add_f64 v[128:129], v[20:21], v[68:69]
	v_add_f64 v[134:135], v[22:23], v[70:71]
	v_add_f64 v[130:131], v[68:69], v[72:73]
	v_add_f64 v[132:133], v[70:71], -v[74:75]
	v_add_f64 v[70:71], v[70:71], v[74:75]
	v_add_f64 v[124:125], v[86:87], -v[90:91]
	;; [unrolled: 6-line block ×3, first 2 shown]
	v_mul_f64 v[116:117], v[46:47], v[146:147]
	v_mul_f64 v[118:119], v[44:45], v[146:147]
	;; [unrolled: 1-line block ×4, first 2 shown]
	v_fma_f64 v[102:103], v[102:103], -0.5, v[42:43]
	v_mul_f64 v[211:212], v[94:95], v[154:155]
	v_mul_f64 v[154:155], v[92:93], v[154:155]
	;; [unrolled: 1-line block ×12, first 2 shown]
	v_fma_f64 v[70:71], v[70:71], -0.5, v[22:23]
	v_fma_f64 v[116:117], v[44:45], v[144:145], -v[116:117]
	v_fma_f64 v[118:119], v[46:47], v[144:145], v[118:119]
	v_fma_f64 v[120:121], v[48:49], v[148:149], -v[120:121]
	v_fma_f64 v[122:123], v[50:51], v[148:149], v[122:123]
	v_add_f64 v[144:145], v[30:31], v[78:79]
	v_add_f64 v[46:47], v[114:115], v[106:107]
	;; [unrolled: 1-line block ×4, first 2 shown]
	v_fma_f64 v[92:93], v[92:93], v[152:153], -v[211:212]
	v_fma_f64 v[94:95], v[94:95], v[152:153], v[154:155]
	v_fma_f64 v[96:97], v[96:97], v[156:157], -v[213:214]
	v_fma_f64 v[98:99], v[98:99], v[156:157], v[158:159]
	;; [unrolled: 2-line block ×6, first 2 shown]
	v_add_f64 v[66:67], v[84:85], v[88:89]
	v_add_f64 v[64:65], v[32:33], v[84:85]
	v_add_f64 v[142:143], v[78:79], -v[82:83]
	v_add_f64 v[78:79], v[78:79], v[82:83]
	v_add_f64 v[106:107], v[116:117], v[120:121]
	;; [unrolled: 1-line block ×3, first 2 shown]
	v_add_f64 v[108:109], v[118:119], -v[122:123]
	v_add_f64 v[84:85], v[84:85], -v[88:89]
	v_add_f64 v[104:105], v[12:13], v[116:117]
	v_add_f64 v[116:117], v[116:117], -v[120:121]
	v_add_f64 v[146:147], v[36:37], v[92:93]
	v_add_f64 v[152:153], v[38:39], v[94:95]
	;; [unrolled: 1-line block ×3, first 2 shown]
	v_add_f64 v[150:151], v[94:95], -v[98:99]
	v_add_f64 v[94:95], v[94:95], v[98:99]
	v_add_f64 v[154:155], v[92:93], -v[96:97]
	v_add_f64 v[156:157], v[48:49], v[52:53]
	v_add_f64 v[162:163], v[50:51], v[54:55]
	v_fma_f64 v[92:93], v[110:111], -0.5, v[40:41]
	v_add_f64 v[173:174], v[26:27], v[58:59]
	v_add_f64 v[168:169], v[56:57], v[60:61]
	v_add_f64 v[171:172], v[58:59], -v[62:63]
	v_add_f64 v[58:59], v[58:59], v[62:63]
	v_add_f64 v[110:111], v[14:15], v[118:119]
	;; [unrolled: 1-line block ×4, first 2 shown]
	v_add_f64 v[175:176], v[56:57], -v[60:61]
	v_fma_f64 v[56:57], v[66:67], -0.5, v[32:33]
	v_fma_f64 v[66:67], v[130:131], -0.5, v[20:21]
	v_add_f64 v[40:41], v[64:65], v[88:89]
	v_fma_f64 v[64:65], v[86:87], -0.5, v[34:35]
	v_add_f64 v[160:161], v[18:19], v[50:51]
	v_add_f64 v[32:33], v[128:129], v[72:73]
	;; [unrolled: 1-line block ×3, first 2 shown]
	v_fma_f64 v[72:73], v[138:139], -0.5, v[28:29]
	v_fma_f64 v[74:75], v[78:79], -0.5, v[30:31]
	v_add_f64 v[22:23], v[144:145], v[82:83]
	v_fma_f64 v[82:83], v[106:107], -0.5, v[12:13]
	v_fma_f64 v[86:87], v[114:115], -0.5, v[14:15]
	v_add_f64 v[158:159], v[50:51], -v[54:55]
	v_add_f64 v[164:165], v[48:49], -v[52:53]
	v_add_f64 v[28:29], v[146:147], v[96:97]
	v_fma_f64 v[96:97], v[94:95], -0.5, v[38:39]
	v_fma_f64 v[90:91], v[156:157], -0.5, v[16:17]
	;; [unrolled: 1-line block ×4, first 2 shown]
	v_add_f64 v[30:31], v[152:153], v[98:99]
	v_fma_f64 v[36:37], v[112:113], s[6:7], v[92:93]
	v_fma_f64 v[38:39], v[100:101], s[2:3], v[102:103]
	;; [unrolled: 1-line block ×3, first 2 shown]
	v_fma_f64 v[98:99], v[168:169], -0.5, v[24:25]
	v_fma_f64 v[100:101], v[58:59], -0.5, v[26:27]
	v_fma_f64 v[48:49], v[112:113], s[2:3], v[92:93]
	v_add_f64 v[12:13], v[118:119], v[52:53]
	v_fma_f64 v[24:25], v[124:125], s[6:7], v[56:57]
	v_fma_f64 v[52:53], v[124:125], s[2:3], v[56:57]
	;; [unrolled: 1-line block ×4, first 2 shown]
	v_add_f64 v[16:17], v[166:167], v[60:61]
	v_add_f64 v[18:19], v[173:174], v[62:63]
	v_fma_f64 v[60:61], v[132:133], s[2:3], v[66:67]
	v_fma_f64 v[62:63], v[68:69], s[6:7], v[70:71]
	;; [unrolled: 1-line block ×3, first 2 shown]
	v_add_f64 v[14:15], v[160:161], v[54:55]
	v_fma_f64 v[54:55], v[84:85], s[6:7], v[64:65]
	v_add_f64 v[20:21], v[136:137], v[80:81]
	v_fma_f64 v[64:65], v[142:143], s[6:7], v[72:73]
	v_fma_f64 v[66:67], v[76:77], s[2:3], v[74:75]
	;; [unrolled: 1-line block ×4, first 2 shown]
	ds_write_b128 v197, v[44:47]
	v_add_f64 v[44:45], v[104:105], v[120:121]
	v_add_f64 v[46:47], v[110:111], v[122:123]
	v_fma_f64 v[80:81], v[108:109], s[6:7], v[82:83]
	v_fma_f64 v[84:85], v[108:109], s[2:3], v[82:83]
	;; [unrolled: 1-line block ×12, first 2 shown]
	ds_write_b128 v197, v[36:39] offset:2400
	v_fma_f64 v[36:37], v[171:172], s[6:7], v[98:99]
	v_fma_f64 v[38:39], v[175:176], s[2:3], v[100:101]
	;; [unrolled: 1-line block ×4, first 2 shown]
	ds_write_b128 v197, v[48:51] offset:4800
	ds_write_b128 v189, v[32:35]
	ds_write_b128 v189, v[56:59] offset:2400
	ds_write_b128 v189, v[60:63] offset:4800
	;; [unrolled: 1-line block ×5, first 2 shown]
	ds_write_b128 v179, v[20:23]
	ds_write_b128 v179, v[64:67] offset:2400
	ds_write_b128 v179, v[68:71] offset:4800
	;; [unrolled: 1-line block ×8, first 2 shown]
	ds_write_b128 v188, v[28:31]
	ds_write_b128 v188, v[72:75] offset:2400
	ds_write_b128 v188, v[76:79] offset:4800
	;; [unrolled: 1-line block ×5, first 2 shown]
	s_and_saveexec_b32 s8, s1
	s_cbranch_execz .LBB0_23
; %bb.22:
	v_add_nc_u32_e32 v13, 0x2d0, v180
	v_lshrrev_b16 v12, 1, v13
	v_mul_u32_u24_sdwa v12, v12, v141 dst_sel:DWORD dst_unused:UNUSED_PAD src0_sel:WORD_0 src1_sel:DWORD
	v_lshrrev_b32_e32 v12, 22, v12
	v_mul_lo_u16 v12, 0x96, v12
	v_sub_nc_u16 v12, v13, v12
	v_and_b32_e32 v24, 0xffff, v12
	v_lshlrev_b32_e32 v12, 5, v24
	v_add_co_u32 v14, s1, s12, v12
	v_add_co_ci_u32_e64 v15, null, s13, 0, s1
	v_add_co_u32 v12, s1, 0x800, v14
	v_add_co_ci_u32_e64 v13, s1, 0, v15, s1
	v_add_co_u32 v16, s1, 0x8c0, v14
	v_add_co_ci_u32_e64 v17, s1, 0, v15, s1
	s_clause 0x1
	global_load_dwordx4 v[12:15], v[12:13], off offset:192
	global_load_dwordx4 v[16:19], v[16:17], off offset:16
	s_waitcnt vmcnt(1)
	v_mul_f64 v[20:21], v[0:1], v[14:15]
	s_waitcnt vmcnt(0)
	v_mul_f64 v[22:23], v[4:5], v[18:19]
	v_mul_f64 v[14:15], v[2:3], v[14:15]
	v_mul_f64 v[18:19], v[6:7], v[18:19]
	v_fma_f64 v[2:3], v[2:3], v[12:13], v[20:21]
	v_fma_f64 v[6:7], v[6:7], v[16:17], v[22:23]
	v_fma_f64 v[0:1], v[0:1], v[12:13], -v[14:15]
	v_fma_f64 v[4:5], v[4:5], v[16:17], -v[18:19]
	v_add_f64 v[18:19], v[10:11], v[2:3]
	v_add_f64 v[12:13], v[2:3], v[6:7]
	;; [unrolled: 1-line block ×3, first 2 shown]
	v_add_f64 v[16:17], v[0:1], -v[4:5]
	v_add_f64 v[0:1], v[8:9], v[0:1]
	v_fma_f64 v[10:11], v[12:13], -0.5, v[10:11]
	v_add_f64 v[12:13], v[2:3], -v[6:7]
	v_fma_f64 v[14:15], v[14:15], -0.5, v[8:9]
	v_add_f64 v[2:3], v[18:19], v[6:7]
	v_add_f64 v[0:1], v[0:1], v[4:5]
	v_fma_f64 v[6:7], v[16:17], s[6:7], v[10:11]
	v_fma_f64 v[10:11], v[16:17], s[2:3], v[10:11]
	v_fma_f64 v[8:9], v[12:13], s[6:7], v[14:15]
	v_fma_f64 v[4:5], v[12:13], s[2:3], v[14:15]
	v_lshl_add_u32 v12, v24, 4, 0
	ds_write_b128 v12, v[0:3] offset:28800
	ds_write_b128 v12, v[8:11] offset:31200
	;; [unrolled: 1-line block ×3, first 2 shown]
.LBB0_23:
	s_or_b32 exec_lo, exec_lo, s8
	v_lshlrev_b32_e32 v139, 2, v180
	s_waitcnt lgkmcnt(0)
	s_barrier
	buffer_gl0_inv
	v_mov_b32_e32 v179, v228
	v_lshlrev_b64 v[0:1], 4, v[139:140]
	v_lshlrev_b32_e32 v139, 2, v186
	s_mov_b32 s16, s14
	s_mov_b32 s6, 0x4755a5e
	;; [unrolled: 1-line block ×4, first 2 shown]
	v_add_co_u32 v2, s1, s12, v0
	v_add_co_ci_u32_e64 v3, s1, s13, v1, s1
	v_lshlrev_b64 v[0:1], 4, v[139:140]
	v_add_co_u32 v8, s1, 0x1b80, v2
	v_add_co_ci_u32_e64 v9, s1, 0, v3, s1
	v_add_co_u32 v2, s1, 0x1800, v2
	v_add_co_ci_u32_e64 v3, s1, 0, v3, s1
	v_add_co_u32 v12, s1, s12, v0
	v_lshlrev_b32_e32 v139, 2, v228
	v_add_co_ci_u32_e64 v13, s1, s13, v1, s1
	v_add_co_u32 v10, s1, 0x1800, v12
	v_lshlrev_b64 v[32:33], 4, v[139:140]
	v_add_co_ci_u32_e64 v11, s1, 0, v13, s1
	v_add_co_u32 v20, s1, 0x1b80, v12
	v_add_co_ci_u32_e64 v21, s1, 0, v13, s1
	v_add_co_u32 v36, s1, s12, v32
	v_lshlrev_b32_e32 v139, 2, v195
	v_add_co_ci_u32_e64 v37, s1, s13, v33, s1
	v_add_co_u32 v32, s1, 0x1b80, v36
	v_lshlrev_b64 v[34:35], 4, v[139:140]
	v_add_co_ci_u32_e64 v33, s1, 0, v37, s1
	v_add_co_u32 v36, s1, 0x1800, v36
	v_add_co_ci_u32_e64 v37, s1, 0, v37, s1
	v_add_co_u32 v38, s1, s12, v34
	v_add_co_ci_u32_e64 v39, s1, s13, v35, s1
	s_clause 0x1
	global_load_dwordx4 v[4:7], v[2:3], off offset:896
	global_load_dwordx4 v[0:3], v[8:9], off offset:48
	v_add_co_u32 v34, s1, 0x1800, v38
	v_lshlrev_b32_e32 v139, 2, v194
	s_clause 0x1
	global_load_dwordx4 v[24:27], v[8:9], off offset:32
	global_load_dwordx4 v[28:31], v[8:9], off offset:16
	v_add_co_ci_u32_e64 v35, s1, 0, v39, s1
	s_clause 0x5
	global_load_dwordx4 v[16:19], v[10:11], off offset:896
	global_load_dwordx4 v[8:11], v[20:21], off offset:48
	;; [unrolled: 1-line block ×6, first 2 shown]
	v_add_co_u32 v36, s1, 0x1b80, v38
	v_add_co_ci_u32_e64 v37, s1, 0, v39, s1
	v_lshlrev_b64 v[38:39], 4, v[139:140]
	s_clause 0x5
	global_load_dwordx4 v[72:75], v[32:33], off offset:32
	global_load_dwordx4 v[80:83], v[32:33], off offset:16
	;; [unrolled: 1-line block ×6, first 2 shown]
	s_mov_b32 s2, 0x372fe950
	s_mov_b32 s3, 0x3fd3c6ef
	v_add_co_u32 v34, s1, s12, v38
	v_add_co_ci_u32_e64 v35, s1, s13, v39, s1
	v_add_co_u32 v32, s1, 0x1800, v34
	v_add_co_ci_u32_e64 v33, s1, 0, v35, s1
	;; [unrolled: 2-line block ×3, first 2 shown]
	s_clause 0x3
	global_load_dwordx4 v[84:87], v[32:33], off offset:896
	global_load_dwordx4 v[96:99], v[34:35], off offset:16
	;; [unrolled: 1-line block ×4, first 2 shown]
	ds_read_b128 v[44:47], v170
	ds_read_b128 v[171:174], v197 offset:14400
	ds_read_b128 v[136:139], v197 offset:15840
	ds_read_b128 v[160:163], v197 offset:28800
	ds_read_b128 v[128:131], v197 offset:30240
	ds_read_b128 v[164:167], v197 offset:8640
	ds_read_b128 v[132:135], v197 offset:10080
	ds_read_b128 v[152:155], v197 offset:23040
	ds_read_b128 v[116:119], v197 offset:24480
	ds_read_b128 v[40:43], v198
	ds_read_b128 v[120:123], v197 offset:31680
	ds_read_b128 v[56:59], v197
	ds_read_b128 v[36:39], v197 offset:4320
	ds_read_b128 v[156:159], v197 offset:17280
	;; [unrolled: 1-line block ×13, first 2 shown]
	s_waitcnt vmcnt(0) lgkmcnt(0)
	s_barrier
	buffer_gl0_inv
	v_mul_f64 v[168:169], v[177:178], v[6:7]
	v_mul_f64 v[6:7], v[175:176], v[6:7]
	;; [unrolled: 1-line block ×29, first 2 shown]
	v_fma_f64 v[168:169], v[175:176], v[4:5], -v[168:169]
	v_fma_f64 v[4:5], v[177:178], v[4:5], v[6:7]
	v_mul_f64 v[6:7], v[144:145], v[70:71]
	v_mul_f64 v[70:71], v[150:151], v[62:63]
	v_mul_f64 v[62:63], v[148:149], v[62:63]
	v_mul_f64 v[175:176], v[102:103], v[86:87]
	v_fma_f64 v[171:172], v[171:172], v[28:29], -v[203:204]
	v_fma_f64 v[28:29], v[173:174], v[28:29], v[30:31]
	v_mul_f64 v[30:31], v[100:101], v[86:87]
	v_mul_f64 v[86:87], v[106:107], v[98:99]
	v_mul_f64 v[98:99], v[104:105], v[98:99]
	v_mul_f64 v[173:174], v[110:111], v[94:95]
	v_fma_f64 v[177:178], v[199:200], v[24:25], -v[205:206]
	v_fma_f64 v[24:25], v[201:202], v[24:25], v[26:27]
	v_mul_f64 v[26:27], v[108:109], v[94:95]
	v_fma_f64 v[160:161], v[160:161], v[0:1], -v[207:208]
	v_mul_f64 v[94:95], v[114:115], v[90:91]
	v_mul_f64 v[90:91], v[112:113], v[90:91]
	v_fma_f64 v[2:3], v[162:163], v[0:1], v[2:3]
	v_fma_f64 v[0:1], v[164:165], v[16:17], -v[209:210]
	v_fma_f64 v[16:17], v[166:167], v[16:17], v[18:19]
	v_fma_f64 v[18:19], v[136:137], v[20:21], -v[211:212]
	;; [unrolled: 2-line block ×15, first 2 shown]
	v_fma_f64 v[26:27], v[110:111], v[92:93], v[26:27]
	v_add_f64 v[106:107], v[171:172], -v[168:169]
	v_add_f64 v[108:109], v[177:178], -v[160:161]
	v_add_f64 v[110:111], v[58:59], v[4:5]
	v_fma_f64 v[92:93], v[112:113], v[88:89], -v[94:95]
	v_fma_f64 v[88:89], v[114:115], v[88:89], v[90:91]
	v_add_f64 v[94:95], v[171:172], v[177:178]
	v_add_f64 v[96:97], v[4:5], -v[2:3]
	v_add_f64 v[104:105], v[168:169], v[160:161]
	v_add_f64 v[112:113], v[28:29], v[24:25]
	v_add_f64 v[118:119], v[4:5], -v[28:29]
	v_add_f64 v[122:123], v[4:5], v[2:3]
	v_add_f64 v[4:5], v[28:29], -v[4:5]
	v_add_f64 v[124:125], v[24:25], -v[2:3]
	v_add_f64 v[126:127], v[44:45], v[0:1]
	v_add_f64 v[134:135], v[0:1], -v[18:19]
	;; [unrolled: 3-line block ×3, first 2 shown]
	v_add_f64 v[142:143], v[22:23], -v[14:15]
	v_add_f64 v[128:129], v[18:19], v[22:23]
	v_add_f64 v[138:139], v[0:1], v[14:15]
	;; [unrolled: 1-line block ×4, first 2 shown]
	v_add_f64 v[148:149], v[0:1], -v[14:15]
	v_add_f64 v[0:1], v[16:17], -v[20:21]
	;; [unrolled: 1-line block ×3, first 2 shown]
	v_add_f64 v[154:155], v[16:17], v[8:9]
	v_add_f64 v[100:101], v[168:169], -v[171:172]
	v_add_f64 v[102:103], v[160:161], -v[177:178]
	;; [unrolled: 1-line block ×5, first 2 shown]
	v_add_f64 v[158:159], v[40:41], v[10:11]
	v_add_f64 v[162:163], v[54:55], v[82:83]
	;; [unrolled: 1-line block ×4, first 2 shown]
	v_add_f64 v[114:115], v[168:169], -v[160:161]
	v_add_f64 v[168:169], v[10:11], -v[54:55]
	v_add_f64 v[175:176], v[10:11], v[74:75]
	v_add_f64 v[199:200], v[54:55], -v[10:11]
	v_add_f64 v[207:208], v[10:11], -v[74:75]
	;; [unrolled: 1-line block ×4, first 2 shown]
	v_add_f64 v[213:214], v[52:53], v[48:49]
	v_add_f64 v[164:165], v[52:53], -v[48:49]
	v_add_f64 v[173:174], v[74:75], -v[82:83]
	;; [unrolled: 1-line block ×4, first 2 shown]
	v_add_f64 v[217:218], v[36:37], v[50:51]
	v_add_f64 v[219:220], v[66:67], v[78:79]
	;; [unrolled: 1-line block ×5, first 2 shown]
	v_add_f64 v[98:99], v[28:29], -v[24:25]
	v_add_f64 v[120:121], v[2:3], -v[24:25]
	;; [unrolled: 1-line block ×3, first 2 shown]
	v_add_f64 v[235:236], v[38:39], v[64:65]
	v_add_f64 v[241:242], v[64:65], -v[76:77]
	v_add_f64 v[64:65], v[76:77], -v[64:65]
	;; [unrolled: 1-line block ×3, first 2 shown]
	v_add_f64 v[249:250], v[32:33], v[62:63]
	v_add_f64 v[251:252], v[70:71], v[86:87]
	;; [unrolled: 1-line block ×6, first 2 shown]
	v_add_f64 v[150:151], v[18:19], -v[22:23]
	v_fma_f64 v[94:95], v[94:95], -0.5, v[56:57]
	v_fma_f64 v[56:57], v[104:105], -0.5, v[56:57]
	;; [unrolled: 1-line block ×4, first 2 shown]
	v_add_f64 v[122:123], v[62:63], v[92:93]
	v_add_f64 v[124:125], v[4:5], v[124:125]
	v_add_f64 v[4:5], v[30:31], -v[84:85]
	v_add_f64 v[18:19], v[126:127], v[18:19]
	v_add_f64 v[126:127], v[88:89], -v[26:27]
	v_add_f64 v[134:135], v[134:135], v[136:137]
	v_add_f64 v[136:137], v[30:31], v[88:89]
	v_add_f64 v[253:254], v[30:31], -v[88:89]
	v_add_f64 v[90:91], v[90:91], v[171:172]
	v_add_f64 v[30:31], v[84:85], -v[30:31]
	;; [unrolled: 2-line block ×3, first 2 shown]
	v_add_f64 v[116:117], v[171:172], -v[177:178]
	v_add_f64 v[132:133], v[20:21], -v[12:13]
	v_fma_f64 v[128:129], v[128:129], -0.5, v[44:45]
	v_fma_f64 v[44:45], v[138:139], -0.5, v[44:45]
	v_add_f64 v[20:21], v[144:145], v[20:21]
	v_fma_f64 v[138:139], v[146:147], -0.5, v[46:47]
	v_add_f64 v[144:145], v[0:1], v[152:153]
	v_fma_f64 v[0:1], v[154:155], -0.5, v[46:47]
	v_add_f64 v[171:172], v[70:71], -v[62:63]
	v_add_f64 v[100:101], v[100:101], v[102:103]
	v_add_f64 v[102:103], v[86:87], -v[92:93]
	v_add_f64 v[166:167], v[80:81], -v[72:73]
	;; [unrolled: 1-line block ×3, first 2 shown]
	v_add_f64 v[46:47], v[16:17], v[156:157]
	v_add_f64 v[16:17], v[158:159], v[54:55]
	v_fma_f64 v[54:55], v[162:163], -0.5, v[40:41]
	v_add_f64 v[80:81], v[203:204], v[80:81]
	v_fma_f64 v[154:155], v[205:206], -0.5, v[42:43]
	v_add_f64 v[187:188], v[62:63], -v[70:71]
	v_add_f64 v[112:113], v[92:93], -v[86:87]
	v_fma_f64 v[40:41], v[175:176], -0.5, v[40:41]
	v_add_f64 v[156:157], v[10:11], v[211:212]
	v_fma_f64 v[10:11], v[213:214], -0.5, v[42:43]
	v_add_f64 v[201:202], v[82:83], -v[74:75]
	v_add_f64 v[225:226], v[50:51], -v[66:67]
	;; [unrolled: 1-line block ×4, first 2 shown]
	v_add_f64 v[146:147], v[168:169], v[173:174]
	v_add_f64 v[158:159], v[52:53], v[215:216]
	;; [unrolled: 1-line block ×3, first 2 shown]
	v_fma_f64 v[52:53], v[219:220], -0.5, v[36:37]
	v_fma_f64 v[168:169], v[237:238], -0.5, v[38:39]
	v_add_f64 v[223:224], v[76:77], -v[6:7]
	v_add_f64 v[239:240], v[66:67], -v[78:79]
	v_fma_f64 v[36:37], v[229:230], -0.5, v[36:37]
	v_fma_f64 v[38:39], v[245:246], -0.5, v[38:39]
	v_add_f64 v[189:190], v[84:85], -v[26:27]
	v_add_f64 v[62:63], v[62:63], -v[92:93]
	v_add_f64 v[118:119], v[118:119], v[120:121]
	v_add_f64 v[120:121], v[70:71], -v[86:87]
	v_add_f64 v[175:176], v[64:65], v[247:248]
	v_add_f64 v[64:65], v[249:250], v[70:71]
	v_fma_f64 v[70:71], v[251:252], -0.5, v[32:33]
	v_add_f64 v[84:85], v[108:109], v[84:85]
	v_fma_f64 v[108:109], v[110:111], -0.5, v[34:35]
	v_fma_f64 v[32:33], v[122:123], -0.5, v[32:33]
	v_add_f64 v[110:111], v[4:5], v[126:127]
	v_fma_f64 v[4:5], v[136:137], -0.5, v[34:35]
	v_add_f64 v[122:123], v[30:31], v[142:143]
	v_add_f64 v[30:31], v[90:91], v[177:178]
	v_fma_f64 v[34:35], v[96:97], s[14:15], v[94:95]
	v_fma_f64 v[90:91], v[96:97], s[16:17], v[94:95]
	;; [unrolled: 1-line block ×3, first 2 shown]
	v_add_f64 v[24:25], v[28:29], v[24:25]
	v_fma_f64 v[28:29], v[114:115], s[16:17], v[104:105]
	v_fma_f64 v[126:127], v[116:117], s[14:15], v[58:59]
	;; [unrolled: 1-line block ×5, first 2 shown]
	v_add_f64 v[18:19], v[18:19], v[22:23]
	v_fma_f64 v[22:23], v[130:131], s[14:15], v[128:129]
	v_add_f64 v[12:13], v[20:21], v[12:13]
	v_fma_f64 v[20:21], v[148:149], s[16:17], v[138:139]
	v_fma_f64 v[136:137], v[132:133], s[16:17], v[44:45]
	;; [unrolled: 1-line block ×4, first 2 shown]
	v_add_f64 v[102:103], v[171:172], v[102:103]
	v_fma_f64 v[128:129], v[130:131], s[16:17], v[128:129]
	v_fma_f64 v[171:172], v[150:151], s[16:17], v[0:1]
	;; [unrolled: 1-line block ×3, first 2 shown]
	v_add_f64 v[76:77], v[235:236], v[76:77]
	v_add_f64 v[16:17], v[16:17], v[82:83]
	v_fma_f64 v[82:83], v[164:165], s[14:15], v[54:55]
	v_add_f64 v[72:73], v[80:81], v[72:73]
	v_fma_f64 v[80:81], v[207:208], s[16:17], v[154:155]
	v_add_f64 v[112:113], v[187:188], v[112:113]
	v_fma_f64 v[177:178], v[166:167], s[16:17], v[40:41]
	v_fma_f64 v[187:188], v[209:210], s[14:15], v[10:11]
	v_add_f64 v[152:153], v[199:200], v[201:202]
	v_fma_f64 v[40:41], v[166:167], s[14:15], v[40:41]
	v_fma_f64 v[199:200], v[209:210], s[16:17], v[10:11]
	;; [unrolled: 1-line block ×4, first 2 shown]
	v_add_f64 v[227:228], v[68:69], -v[78:79]
	v_add_f64 v[233:234], v[78:79], -v[68:69]
	;; [unrolled: 1-line block ×3, first 2 shown]
	v_add_f64 v[42:43], v[42:43], v[78:79]
	v_fma_f64 v[78:79], v[221:222], s[14:15], v[52:53]
	v_fma_f64 v[52:53], v[221:222], s[16:17], v[52:53]
	;; [unrolled: 1-line block ×8, first 2 shown]
	v_add_f64 v[64:65], v[64:65], v[86:87]
	v_fma_f64 v[86:87], v[253:254], s[14:15], v[70:71]
	v_add_f64 v[26:27], v[84:85], v[26:27]
	v_fma_f64 v[84:85], v[62:63], s[16:17], v[108:109]
	v_fma_f64 v[211:212], v[189:190], s[16:17], v[32:33]
	;; [unrolled: 1-line block ×7, first 2 shown]
	v_add_f64 v[0:1], v[30:31], v[160:161]
	v_fma_f64 v[30:31], v[98:99], s[6:7], v[34:35]
	v_fma_f64 v[34:35], v[98:99], s[8:9], v[90:91]
	;; [unrolled: 1-line block ×8, first 2 shown]
	v_add_f64 v[2:3], v[24:25], v[2:3]
	v_fma_f64 v[104:105], v[132:133], s[6:7], v[22:23]
	v_fma_f64 v[126:127], v[150:151], s[8:9], v[20:21]
	;; [unrolled: 1-line block ×8, first 2 shown]
	v_add_f64 v[76:77], v[76:77], v[6:7]
	v_add_f64 v[6:7], v[12:13], v[8:9]
	;; [unrolled: 1-line block ×3, first 2 shown]
	v_fma_f64 v[74:75], v[166:167], s[6:7], v[82:83]
	v_add_f64 v[10:11], v[72:73], v[48:49]
	v_fma_f64 v[72:73], v[209:210], s[8:9], v[80:81]
	v_fma_f64 v[82:83], v[164:165], s[6:7], v[177:178]
	;; [unrolled: 1-line block ×7, first 2 shown]
	v_add_f64 v[66:67], v[225:226], v[227:228]
	v_add_f64 v[173:174], v[241:242], v[243:244]
	;; [unrolled: 1-line block ×3, first 2 shown]
	v_fma_f64 v[68:69], v[223:224], s[6:7], v[78:79]
	v_fma_f64 v[78:79], v[223:224], s[8:9], v[52:53]
	;; [unrolled: 1-line block ×3, first 2 shown]
	v_add_f64 v[162:163], v[231:232], v[233:234]
	v_fma_f64 v[148:149], v[221:222], s[6:7], v[201:202]
	v_fma_f64 v[164:165], v[50:51], s[8:9], v[205:206]
	;; [unrolled: 1-line block ×10, first 2 shown]
	v_add_f64 v[16:17], v[64:65], v[92:93]
	v_fma_f64 v[92:93], v[189:190], s[8:9], v[70:71]
	v_fma_f64 v[171:172], v[253:254], s[8:9], v[32:33]
	v_fma_f64 v[187:188], v[62:63], s[6:7], v[215:216]
	v_fma_f64 v[20:21], v[100:101], s[2:3], v[30:31]
	v_fma_f64 v[22:23], v[118:119], s[2:3], v[94:95]
	v_fma_f64 v[28:29], v[106:107], s[2:3], v[90:91]
	v_fma_f64 v[30:31], v[124:125], s[2:3], v[98:99]
	v_fma_f64 v[24:25], v[100:101], s[2:3], v[34:35]
	v_fma_f64 v[32:33], v[106:107], s[2:3], v[56:57]
	v_fma_f64 v[34:35], v[124:125], s[2:3], v[58:59]
	v_add_f64 v[4:5], v[18:19], v[14:15]
	v_add_f64 v[18:19], v[26:27], v[88:89]
	v_fma_f64 v[26:27], v[118:119], s[2:3], v[96:97]
	ds_write_b128 v197, v[0:3]
	v_fma_f64 v[0:1], v[134:135], s[2:3], v[104:105]
	v_fma_f64 v[2:3], v[144:145], s[2:3], v[126:127]
	;; [unrolled: 1-line block ×12, first 2 shown]
	v_add_f64 v[14:15], v[76:77], v[60:61]
	v_fma_f64 v[60:61], v[152:153], s[2:3], v[136:137]
	v_fma_f64 v[62:63], v[158:159], s[2:3], v[142:143]
	;; [unrolled: 1-line block ×20, first 2 shown]
	ds_write_b128 v197, v[20:23] offset:7200
	ds_write_b128 v197, v[28:31] offset:14400
	;; [unrolled: 1-line block ×4, first 2 shown]
	ds_write_b128 v170, v[4:7]
	ds_write_b128 v170, v[0:3] offset:7200
	ds_write_b128 v170, v[40:43] offset:14400
	;; [unrolled: 1-line block ×4, first 2 shown]
	ds_write_b128 v198, v[8:11]
	ds_write_b128 v198, v[48:51] offset:7200
	ds_write_b128 v198, v[56:59] offset:14400
	;; [unrolled: 1-line block ×14, first 2 shown]
	s_waitcnt lgkmcnt(0)
	s_barrier
	buffer_gl0_inv
	ds_read_b128 v[4:7], v197
	v_lshlrev_b32_e32 v0, 4, v180
	s_add_u32 s2, s12, 0x8c00
	s_addc_u32 s3, s13, 0
	s_mov_b32 s6, exec_lo
                                        ; implicit-def: $vgpr2_vgpr3
                                        ; implicit-def: $vgpr8_vgpr9
	v_sub_nc_u32_e32 v10, 0, v0
	v_cmpx_ne_u32_e32 0, v180
	s_xor_b32 s6, exec_lo, s6
	s_cbranch_execz .LBB0_25
; %bb.24:
	v_mov_b32_e32 v181, 0
	v_lshlrev_b64 v[0:1], 4, v[180:181]
	v_add_co_u32 v0, s1, s2, v0
	v_add_co_ci_u32_e64 v1, s1, s3, v1, s1
	global_load_dwordx4 v[11:14], v[0:1], off
	ds_read_b128 v[0:3], v10 offset:36000
	s_waitcnt lgkmcnt(0)
	v_add_f64 v[8:9], v[4:5], -v[0:1]
	v_add_f64 v[15:16], v[6:7], v[2:3]
	v_add_f64 v[2:3], v[6:7], -v[2:3]
	v_add_f64 v[0:1], v[4:5], v[0:1]
	v_mul_f64 v[6:7], v[8:9], 0.5
	v_mul_f64 v[4:5], v[15:16], 0.5
	;; [unrolled: 1-line block ×3, first 2 shown]
	s_waitcnt vmcnt(0)
	v_mul_f64 v[8:9], v[6:7], v[13:14]
	v_fma_f64 v[15:16], v[4:5], v[13:14], v[2:3]
	v_fma_f64 v[2:3], v[4:5], v[13:14], -v[2:3]
	v_fma_f64 v[17:18], v[0:1], 0.5, v[8:9]
	v_fma_f64 v[0:1], v[0:1], 0.5, -v[8:9]
	v_fma_f64 v[8:9], -v[11:12], v[6:7], v[15:16]
	v_fma_f64 v[2:3], -v[11:12], v[6:7], v[2:3]
	v_fma_f64 v[13:14], v[4:5], v[11:12], v[17:18]
	v_fma_f64 v[0:1], -v[4:5], v[11:12], v[0:1]
                                        ; implicit-def: $vgpr4_vgpr5
	ds_write_b64 v197, v[13:14]
.LBB0_25:
	s_andn2_saveexec_b32 s1, s6
	s_cbranch_execz .LBB0_27
; %bb.26:
	v_mov_b32_e32 v15, 0
	s_waitcnt lgkmcnt(0)
	v_add_f64 v[13:14], v[4:5], v[6:7]
	v_add_f64 v[0:1], v[4:5], -v[6:7]
	v_mov_b32_e32 v8, 0
	v_mov_b32_e32 v9, 0
	ds_read_b64 v[11:12], v15 offset:18008
	v_mov_b32_e32 v2, v8
	v_mov_b32_e32 v3, v9
	s_waitcnt lgkmcnt(0)
	v_xor_b32_e32 v12, 0x80000000, v12
	ds_write_b64 v197, v[13:14]
	ds_write_b64 v15, v[11:12] offset:18008
.LBB0_27:
	s_or_b32 exec_lo, exec_lo, s1
	v_mov_b32_e32 v187, 0
	v_mov_b32_e32 v11, v179
	ds_write_b64 v197, v[8:9] offset:8
	ds_write_b128 v10, v[0:3] offset:36000
	s_waitcnt lgkmcnt(2)
	v_lshlrev_b64 v[4:5], 4, v[186:187]
	v_mov_b32_e32 v12, v187
	v_mov_b32_e32 v196, v187
	v_add_nc_u32_e32 v186, 0x32a, v180
	v_lshlrev_b64 v[11:12], 4, v[11:12]
	v_add_co_u32 v4, s1, s2, v4
	v_add_co_ci_u32_e64 v5, s1, s3, v5, s1
	v_lshlrev_b64 v[8:9], 4, v[195:196]
	v_add_co_u32 v11, s1, s2, v11
	global_load_dwordx4 v[4:7], v[4:5], off
	v_add_co_ci_u32_e64 v12, s1, s3, v12, s1
	v_add_co_u32 v8, s1, s2, v8
	v_add_co_ci_u32_e64 v9, s1, s3, v9, s1
	global_load_dwordx4 v[11:14], v[11:12], off
	ds_read_b128 v[0:3], v170
	ds_read_b128 v[15:18], v10 offset:34560
	v_mov_b32_e32 v195, v187
	global_load_dwordx4 v[19:22], v[8:9], off
	s_waitcnt lgkmcnt(0)
	v_add_f64 v[8:9], v[0:1], -v[15:16]
	v_add_f64 v[23:24], v[2:3], v[17:18]
	v_add_f64 v[2:3], v[2:3], -v[17:18]
	v_add_f64 v[0:1], v[0:1], v[15:16]
	v_mul_f64 v[8:9], v[8:9], 0.5
	v_mul_f64 v[17:18], v[23:24], 0.5
	;; [unrolled: 1-line block ×3, first 2 shown]
	s_waitcnt vmcnt(2)
	v_mul_f64 v[15:16], v[8:9], v[6:7]
	v_fma_f64 v[23:24], v[17:18], v[6:7], v[2:3]
	v_fma_f64 v[6:7], v[17:18], v[6:7], -v[2:3]
	v_fma_f64 v[25:26], v[0:1], 0.5, v[15:16]
	v_fma_f64 v[15:16], v[0:1], 0.5, -v[15:16]
	v_fma_f64 v[2:3], -v[4:5], v[8:9], v[23:24]
	v_fma_f64 v[6:7], -v[4:5], v[8:9], v[6:7]
	v_lshlrev_b64 v[8:9], 4, v[194:195]
	v_mov_b32_e32 v194, v187
	v_add_co_u32 v8, s1, s2, v8
	v_add_co_ci_u32_e64 v9, s1, s3, v9, s1
	v_fma_f64 v[0:1], v[17:18], v[4:5], v[25:26]
	v_fma_f64 v[4:5], -v[17:18], v[4:5], v[15:16]
	ds_write_b128 v170, v[0:3]
	ds_write_b128 v10, v[4:7] offset:34560
	ds_read_b128 v[0:3], v198
	ds_read_b128 v[4:7], v10 offset:33120
	global_load_dwordx4 v[15:18], v[8:9], off
	s_waitcnt lgkmcnt(0)
	v_add_f64 v[8:9], v[0:1], -v[4:5]
	v_add_f64 v[23:24], v[2:3], v[6:7]
	v_add_f64 v[2:3], v[2:3], -v[6:7]
	v_add_f64 v[0:1], v[0:1], v[4:5]
	v_mul_f64 v[6:7], v[8:9], 0.5
	v_mul_f64 v[8:9], v[23:24], 0.5
	;; [unrolled: 1-line block ×3, first 2 shown]
	s_waitcnt vmcnt(2)
	v_mul_f64 v[4:5], v[6:7], v[13:14]
	v_fma_f64 v[23:24], v[8:9], v[13:14], v[2:3]
	v_fma_f64 v[13:14], v[8:9], v[13:14], -v[2:3]
	v_fma_f64 v[25:26], v[0:1], 0.5, v[4:5]
	v_fma_f64 v[4:5], v[0:1], 0.5, -v[4:5]
	v_fma_f64 v[2:3], -v[11:12], v[6:7], v[23:24]
	v_fma_f64 v[6:7], -v[11:12], v[6:7], v[13:14]
	v_fma_f64 v[0:1], v[8:9], v[11:12], v[25:26]
	v_fma_f64 v[4:5], -v[8:9], v[11:12], v[4:5]
	v_lshlrev_b64 v[8:9], 4, v[193:194]
	v_mov_b32_e32 v193, v187
	ds_write_b128 v198, v[0:3]
	ds_write_b128 v10, v[4:7] offset:33120
	v_add_co_u32 v8, s1, s2, v8
	ds_read_b128 v[0:3], v197 offset:4320
	ds_read_b128 v[4:7], v10 offset:31680
	v_add_co_ci_u32_e64 v9, s1, s3, v9, s1
	global_load_dwordx4 v[11:14], v[8:9], off
	s_waitcnt lgkmcnt(0)
	v_add_f64 v[8:9], v[0:1], -v[4:5]
	v_add_f64 v[23:24], v[2:3], v[6:7]
	v_add_f64 v[2:3], v[2:3], -v[6:7]
	v_add_f64 v[0:1], v[0:1], v[4:5]
	v_mul_f64 v[6:7], v[8:9], 0.5
	v_mul_f64 v[8:9], v[23:24], 0.5
	;; [unrolled: 1-line block ×3, first 2 shown]
	s_waitcnt vmcnt(2)
	v_mul_f64 v[4:5], v[6:7], v[21:22]
	v_fma_f64 v[23:24], v[8:9], v[21:22], v[2:3]
	v_fma_f64 v[21:22], v[8:9], v[21:22], -v[2:3]
	v_fma_f64 v[25:26], v[0:1], 0.5, v[4:5]
	v_fma_f64 v[4:5], v[0:1], 0.5, -v[4:5]
	v_fma_f64 v[2:3], -v[19:20], v[6:7], v[23:24]
	v_fma_f64 v[6:7], -v[19:20], v[6:7], v[21:22]
	v_fma_f64 v[0:1], v[8:9], v[19:20], v[25:26]
	v_fma_f64 v[4:5], -v[8:9], v[19:20], v[4:5]
	v_lshlrev_b64 v[8:9], 4, v[192:193]
	v_mov_b32_e32 v192, v187
	ds_write_b128 v197, v[0:3] offset:4320
	ds_write_b128 v10, v[4:7] offset:31680
	ds_read_b128 v[0:3], v197 offset:5760
	ds_read_b128 v[4:7], v10 offset:30240
	v_add_co_u32 v8, s1, s2, v8
	v_add_co_ci_u32_e64 v9, s1, s3, v9, s1
	global_load_dwordx4 v[19:22], v[8:9], off
	s_waitcnt lgkmcnt(0)
	v_add_f64 v[8:9], v[0:1], -v[4:5]
	v_add_f64 v[23:24], v[2:3], v[6:7]
	v_add_f64 v[2:3], v[2:3], -v[6:7]
	v_add_f64 v[0:1], v[0:1], v[4:5]
	v_mul_f64 v[6:7], v[8:9], 0.5
	v_mul_f64 v[8:9], v[23:24], 0.5
	;; [unrolled: 1-line block ×3, first 2 shown]
	s_waitcnt vmcnt(2)
	v_mul_f64 v[4:5], v[6:7], v[17:18]
	v_fma_f64 v[23:24], v[8:9], v[17:18], v[2:3]
	v_fma_f64 v[17:18], v[8:9], v[17:18], -v[2:3]
	v_fma_f64 v[25:26], v[0:1], 0.5, v[4:5]
	v_fma_f64 v[4:5], v[0:1], 0.5, -v[4:5]
	v_fma_f64 v[2:3], -v[15:16], v[6:7], v[23:24]
	v_fma_f64 v[6:7], -v[15:16], v[6:7], v[17:18]
	v_fma_f64 v[0:1], v[8:9], v[15:16], v[25:26]
	v_fma_f64 v[4:5], -v[8:9], v[15:16], v[4:5]
	v_lshlrev_b64 v[8:9], 4, v[191:192]
	ds_write_b128 v197, v[0:3] offset:5760
	ds_write_b128 v10, v[4:7] offset:30240
	ds_read_b128 v[0:3], v197 offset:7200
	ds_read_b128 v[4:7], v10 offset:28800
	v_add_co_u32 v8, s1, s2, v8
	v_add_co_ci_u32_e64 v9, s1, s3, v9, s1
	global_load_dwordx4 v[15:18], v[8:9], off
	s_waitcnt lgkmcnt(0)
	v_add_f64 v[8:9], v[0:1], -v[4:5]
	v_add_f64 v[23:24], v[2:3], v[6:7]
	v_add_f64 v[2:3], v[2:3], -v[6:7]
	v_add_f64 v[0:1], v[0:1], v[4:5]
	v_mul_f64 v[6:7], v[8:9], 0.5
	v_mul_f64 v[8:9], v[23:24], 0.5
	;; [unrolled: 1-line block ×3, first 2 shown]
	s_waitcnt vmcnt(2)
	v_mul_f64 v[4:5], v[6:7], v[13:14]
	v_fma_f64 v[23:24], v[8:9], v[13:14], v[2:3]
	v_fma_f64 v[13:14], v[8:9], v[13:14], -v[2:3]
	v_fma_f64 v[25:26], v[0:1], 0.5, v[4:5]
	v_fma_f64 v[4:5], v[0:1], 0.5, -v[4:5]
	v_fma_f64 v[2:3], -v[11:12], v[6:7], v[23:24]
	v_fma_f64 v[6:7], -v[11:12], v[6:7], v[13:14]
	v_fma_f64 v[0:1], v[8:9], v[11:12], v[25:26]
	v_fma_f64 v[4:5], -v[8:9], v[11:12], v[4:5]
	s_clause 0x1
	buffer_load_dword v8, off, s[28:31], 0
	buffer_load_dword v9, off, s[28:31], 0 offset:4
	s_waitcnt vmcnt(0)
	v_mov_b32_e32 v9, v187
	ds_write_b128 v197, v[0:3] offset:7200
	ds_write_b128 v10, v[4:7] offset:28800
	ds_read_b128 v[0:3], v197 offset:8640
	ds_read_b128 v[4:7], v10 offset:27360
	s_waitcnt lgkmcnt(0)
	v_add_f64 v[23:24], v[2:3], v[6:7]
	v_add_f64 v[2:3], v[2:3], -v[6:7]
	v_mul_f64 v[2:3], v[2:3], 0.5
	v_lshlrev_b64 v[8:9], 4, v[8:9]
	v_add_co_u32 v8, s1, s2, v8
	v_add_co_ci_u32_e64 v9, s1, s3, v9, s1
	global_load_dwordx4 v[11:14], v[8:9], off
	v_add_f64 v[8:9], v[0:1], -v[4:5]
	v_add_f64 v[0:1], v[0:1], v[4:5]
	v_mul_f64 v[6:7], v[8:9], 0.5
	v_mul_f64 v[8:9], v[23:24], 0.5
	v_mul_f64 v[4:5], v[6:7], v[21:22]
	v_fma_f64 v[23:24], v[8:9], v[21:22], v[2:3]
	v_fma_f64 v[21:22], v[8:9], v[21:22], -v[2:3]
	v_fma_f64 v[25:26], v[0:1], 0.5, v[4:5]
	v_fma_f64 v[4:5], v[0:1], 0.5, -v[4:5]
	v_fma_f64 v[2:3], -v[19:20], v[6:7], v[23:24]
	v_fma_f64 v[6:7], -v[19:20], v[6:7], v[21:22]
	v_fma_f64 v[0:1], v[8:9], v[19:20], v[25:26]
	v_fma_f64 v[4:5], -v[8:9], v[19:20], v[4:5]
	v_lshlrev_b64 v[8:9], 4, v[186:187]
	v_add_nc_u32_e32 v186, 0x384, v180
	ds_write_b128 v197, v[0:3] offset:8640
	ds_write_b128 v10, v[4:7] offset:27360
	v_add_co_u32 v8, s1, s2, v8
	ds_read_b128 v[0:3], v197 offset:10080
	ds_read_b128 v[4:7], v10 offset:25920
	v_add_co_ci_u32_e64 v9, s1, s3, v9, s1
	global_load_dwordx4 v[19:22], v[8:9], off
	s_waitcnt lgkmcnt(0)
	v_add_f64 v[8:9], v[0:1], -v[4:5]
	v_add_f64 v[23:24], v[2:3], v[6:7]
	v_add_f64 v[2:3], v[2:3], -v[6:7]
	v_add_f64 v[0:1], v[0:1], v[4:5]
	v_mul_f64 v[6:7], v[8:9], 0.5
	v_mul_f64 v[8:9], v[23:24], 0.5
	;; [unrolled: 1-line block ×3, first 2 shown]
	v_mul_f64 v[4:5], v[6:7], v[17:18]
	v_fma_f64 v[23:24], v[8:9], v[17:18], v[2:3]
	v_fma_f64 v[17:18], v[8:9], v[17:18], -v[2:3]
	v_fma_f64 v[25:26], v[0:1], 0.5, v[4:5]
	v_fma_f64 v[4:5], v[0:1], 0.5, -v[4:5]
	v_fma_f64 v[2:3], -v[15:16], v[6:7], v[23:24]
	v_fma_f64 v[6:7], -v[15:16], v[6:7], v[17:18]
	v_fma_f64 v[0:1], v[8:9], v[15:16], v[25:26]
	v_fma_f64 v[4:5], -v[8:9], v[15:16], v[4:5]
	v_lshlrev_b64 v[8:9], 4, v[186:187]
	v_add_nc_u32_e32 v186, 0x3de, v180
	ds_write_b128 v197, v[0:3] offset:10080
	ds_write_b128 v10, v[4:7] offset:25920
	v_add_co_u32 v8, s1, s2, v8
	ds_read_b128 v[0:3], v197 offset:11520
	ds_read_b128 v[4:7], v10 offset:24480
	v_add_co_ci_u32_e64 v9, s1, s3, v9, s1
	global_load_dwordx4 v[15:18], v[8:9], off
	s_waitcnt lgkmcnt(0)
	v_add_f64 v[8:9], v[0:1], -v[4:5]
	v_add_f64 v[23:24], v[2:3], v[6:7]
	v_add_f64 v[2:3], v[2:3], -v[6:7]
	v_add_f64 v[0:1], v[0:1], v[4:5]
	v_mul_f64 v[6:7], v[8:9], 0.5
	v_mul_f64 v[8:9], v[23:24], 0.5
	;; [unrolled: 1-line block ×3, first 2 shown]
	s_waitcnt vmcnt(2)
	v_mul_f64 v[4:5], v[6:7], v[13:14]
	v_fma_f64 v[23:24], v[8:9], v[13:14], v[2:3]
	v_fma_f64 v[13:14], v[8:9], v[13:14], -v[2:3]
	v_fma_f64 v[25:26], v[0:1], 0.5, v[4:5]
	v_fma_f64 v[4:5], v[0:1], 0.5, -v[4:5]
	v_fma_f64 v[2:3], -v[11:12], v[6:7], v[23:24]
	v_fma_f64 v[6:7], -v[11:12], v[6:7], v[13:14]
	v_fma_f64 v[0:1], v[8:9], v[11:12], v[25:26]
	v_fma_f64 v[4:5], -v[8:9], v[11:12], v[4:5]
	v_lshlrev_b64 v[8:9], 4, v[186:187]
	ds_write_b128 v197, v[0:3] offset:11520
	ds_write_b128 v10, v[4:7] offset:24480
	v_add_co_u32 v8, s1, s2, v8
	ds_read_b128 v[0:3], v197 offset:12960
	ds_read_b128 v[4:7], v10 offset:23040
	v_add_co_ci_u32_e64 v9, s1, s3, v9, s1
	global_load_dwordx4 v[11:14], v[8:9], off
	s_waitcnt lgkmcnt(0)
	v_add_f64 v[8:9], v[0:1], -v[4:5]
	v_add_f64 v[23:24], v[2:3], v[6:7]
	v_add_f64 v[2:3], v[2:3], -v[6:7]
	v_add_f64 v[0:1], v[0:1], v[4:5]
	v_mul_f64 v[6:7], v[8:9], 0.5
	v_mul_f64 v[8:9], v[23:24], 0.5
	;; [unrolled: 1-line block ×3, first 2 shown]
	s_waitcnt vmcnt(2)
	v_mul_f64 v[4:5], v[6:7], v[21:22]
	v_fma_f64 v[23:24], v[8:9], v[21:22], v[2:3]
	v_fma_f64 v[21:22], v[8:9], v[21:22], -v[2:3]
	v_fma_f64 v[25:26], v[0:1], 0.5, v[4:5]
	v_fma_f64 v[4:5], v[0:1], 0.5, -v[4:5]
	v_fma_f64 v[2:3], -v[19:20], v[6:7], v[23:24]
	v_fma_f64 v[6:7], -v[19:20], v[6:7], v[21:22]
	v_fma_f64 v[0:1], v[8:9], v[19:20], v[25:26]
	v_fma_f64 v[4:5], -v[8:9], v[19:20], v[4:5]
	ds_write_b128 v197, v[0:3] offset:12960
	ds_write_b128 v10, v[4:7] offset:23040
	ds_read_b128 v[0:3], v197 offset:14400
	ds_read_b128 v[4:7], v10 offset:21600
	s_waitcnt lgkmcnt(0)
	v_add_f64 v[8:9], v[0:1], -v[4:5]
	v_add_f64 v[19:20], v[2:3], v[6:7]
	v_add_f64 v[2:3], v[2:3], -v[6:7]
	v_add_f64 v[0:1], v[0:1], v[4:5]
	v_mul_f64 v[6:7], v[8:9], 0.5
	v_mul_f64 v[8:9], v[19:20], 0.5
	;; [unrolled: 1-line block ×3, first 2 shown]
	s_waitcnt vmcnt(1)
	v_mul_f64 v[4:5], v[6:7], v[17:18]
	v_fma_f64 v[19:20], v[8:9], v[17:18], v[2:3]
	v_fma_f64 v[17:18], v[8:9], v[17:18], -v[2:3]
	v_fma_f64 v[21:22], v[0:1], 0.5, v[4:5]
	v_fma_f64 v[4:5], v[0:1], 0.5, -v[4:5]
	v_fma_f64 v[2:3], -v[15:16], v[6:7], v[19:20]
	v_fma_f64 v[6:7], -v[15:16], v[6:7], v[17:18]
	v_fma_f64 v[0:1], v[8:9], v[15:16], v[21:22]
	v_fma_f64 v[4:5], -v[8:9], v[15:16], v[4:5]
	ds_write_b128 v197, v[0:3] offset:14400
	ds_write_b128 v10, v[4:7] offset:21600
	ds_read_b128 v[0:3], v197 offset:15840
	ds_read_b128 v[4:7], v10 offset:20160
	s_waitcnt lgkmcnt(0)
	v_add_f64 v[8:9], v[0:1], -v[4:5]
	v_add_f64 v[15:16], v[2:3], v[6:7]
	v_add_f64 v[2:3], v[2:3], -v[6:7]
	v_add_f64 v[0:1], v[0:1], v[4:5]
	v_mul_f64 v[6:7], v[8:9], 0.5
	v_mul_f64 v[8:9], v[15:16], 0.5
	v_mul_f64 v[2:3], v[2:3], 0.5
	s_waitcnt vmcnt(0)
	v_mul_f64 v[4:5], v[6:7], v[13:14]
	v_fma_f64 v[15:16], v[8:9], v[13:14], v[2:3]
	v_fma_f64 v[13:14], v[8:9], v[13:14], -v[2:3]
	v_fma_f64 v[17:18], v[0:1], 0.5, v[4:5]
	v_fma_f64 v[4:5], v[0:1], 0.5, -v[4:5]
	v_fma_f64 v[2:3], -v[11:12], v[6:7], v[15:16]
	v_fma_f64 v[6:7], -v[11:12], v[6:7], v[13:14]
	v_fma_f64 v[0:1], v[8:9], v[11:12], v[17:18]
	v_fma_f64 v[4:5], -v[8:9], v[11:12], v[4:5]
	ds_write_b128 v197, v[0:3] offset:15840
	ds_write_b128 v10, v[4:7] offset:20160
	s_and_saveexec_b32 s1, s0
	s_cbranch_execz .LBB0_29
; %bb.28:
	v_add_nc_u32_e32 v186, 0x438, v180
	v_lshlrev_b64 v[0:1], 4, v[186:187]
	v_add_co_u32 v0, s0, s2, v0
	v_add_co_ci_u32_e64 v1, s0, s3, v1, s0
	global_load_dwordx4 v[0:3], v[0:1], off
	ds_read_b128 v[4:7], v197 offset:17280
	ds_read_b128 v[11:14], v10 offset:18720
	s_waitcnt lgkmcnt(0)
	v_add_f64 v[8:9], v[4:5], -v[11:12]
	v_add_f64 v[15:16], v[6:7], v[13:14]
	v_add_f64 v[6:7], v[6:7], -v[13:14]
	v_add_f64 v[4:5], v[4:5], v[11:12]
	v_mul_f64 v[8:9], v[8:9], 0.5
	v_mul_f64 v[13:14], v[15:16], 0.5
	;; [unrolled: 1-line block ×3, first 2 shown]
	s_waitcnt vmcnt(0)
	v_mul_f64 v[11:12], v[8:9], v[2:3]
	v_fma_f64 v[15:16], v[13:14], v[2:3], v[6:7]
	v_fma_f64 v[2:3], v[13:14], v[2:3], -v[6:7]
	v_fma_f64 v[6:7], v[4:5], 0.5, v[11:12]
	v_fma_f64 v[11:12], v[4:5], 0.5, -v[11:12]
	v_fma_f64 v[4:5], -v[0:1], v[8:9], v[15:16]
	v_fma_f64 v[8:9], -v[0:1], v[8:9], v[2:3]
	v_fma_f64 v[2:3], v[13:14], v[0:1], v[6:7]
	v_fma_f64 v[6:7], -v[13:14], v[0:1], v[11:12]
	ds_write_b128 v197, v[2:5] offset:17280
	ds_write_b128 v10, v[6:9] offset:18720
.LBB0_29:
	s_or_b32 exec_lo, exec_lo, s1
	s_waitcnt lgkmcnt(0)
	s_barrier
	buffer_gl0_inv
	s_and_saveexec_b32 s0, vcc_lo
	s_cbranch_execz .LBB0_32
; %bb.30:
	v_mul_lo_u32 v2, s5, v184
	v_mul_lo_u32 v3, s4, v185
	v_mad_u64_u32 v[0:1], null, s4, v184, 0
	v_lshl_add_u32 v32, v180, 4, 0
	v_mov_b32_e32 v181, 0
	v_lshlrev_b64 v[10:11], 4, v[182:183]
	v_add_nc_u32_e32 v14, 0x5a, v180
	v_add_nc_u32_e32 v16, 0xb4, v180
	;; [unrolled: 1-line block ×3, first 2 shown]
	v_add3_u32 v1, v1, v3, v2
	ds_read_b128 v[2:5], v32
	ds_read_b128 v[6:9], v32 offset:1440
	v_lshlrev_b64 v[18:19], 4, v[180:181]
	v_mov_b32_e32 v15, v181
	v_mov_b32_e32 v17, v181
	v_lshlrev_b64 v[0:1], 4, v[0:1]
	v_mov_b32_e32 v27, v181
	v_add_nc_u32_e32 v30, 0x276, v180
	v_lshlrev_b64 v[14:15], 4, v[14:15]
	v_lshlrev_b64 v[16:17], 4, v[16:17]
	v_mov_b32_e32 v31, v181
	v_add_co_u32 v0, vcc_lo, s10, v0
	v_add_co_ci_u32_e32 v1, vcc_lo, s11, v1, vcc_lo
	v_lshlrev_b64 v[26:27], 4, v[26:27]
	v_add_co_u32 v0, vcc_lo, v0, v10
	v_add_co_ci_u32_e32 v1, vcc_lo, v1, v11, vcc_lo
	ds_read_b128 v[10:13], v32 offset:2880
	v_add_co_u32 v18, vcc_lo, v0, v18
	v_add_co_ci_u32_e32 v19, vcc_lo, v1, v19, vcc_lo
	s_waitcnt lgkmcnt(2)
	global_store_dwordx4 v[18:19], v[2:5], off
	v_add_co_u32 v2, vcc_lo, v0, v14
	v_add_co_ci_u32_e32 v3, vcc_lo, v1, v15, vcc_lo
	v_add_co_u32 v14, vcc_lo, v0, v16
	v_add_co_ci_u32_e32 v15, vcc_lo, v1, v17, vcc_lo
	v_add_nc_u32_e32 v16, 0x10e, v180
	v_mov_b32_e32 v17, v181
	v_add_nc_u32_e32 v18, 0x168, v180
	v_mov_b32_e32 v19, v181
	s_waitcnt lgkmcnt(1)
	global_store_dwordx4 v[2:3], v[6:9], off
	ds_read_b128 v[2:5], v32 offset:4320
	s_waitcnt lgkmcnt(1)
	global_store_dwordx4 v[14:15], v[10:13], off
	v_lshlrev_b64 v[14:15], 4, v[16:17]
	v_lshlrev_b64 v[16:17], 4, v[18:19]
	v_add_nc_u32_e32 v18, 0x1c2, v180
	ds_read_b128 v[6:9], v32 offset:5760
	ds_read_b128 v[10:13], v32 offset:7200
	v_add_co_u32 v22, vcc_lo, v0, v14
	v_lshlrev_b64 v[18:19], 4, v[18:19]
	v_add_co_ci_u32_e32 v23, vcc_lo, v1, v15, vcc_lo
	v_add_co_u32 v24, vcc_lo, v0, v16
	v_add_co_ci_u32_e32 v25, vcc_lo, v1, v17, vcc_lo
	ds_read_b128 v[14:17], v32 offset:8640
	v_add_co_u32 v28, vcc_lo, v0, v18
	v_add_co_ci_u32_e32 v29, vcc_lo, v1, v19, vcc_lo
	ds_read_b128 v[18:21], v32 offset:10080
	s_waitcnt lgkmcnt(4)
	global_store_dwordx4 v[22:23], v[2:5], off
	s_waitcnt lgkmcnt(3)
	global_store_dwordx4 v[24:25], v[6:9], off
	;; [unrolled: 2-line block ×3, first 2 shown]
	v_lshlrev_b64 v[2:3], 4, v[30:31]
	v_add_co_u32 v4, vcc_lo, v0, v26
	v_add_co_ci_u32_e32 v5, vcc_lo, v1, v27, vcc_lo
	v_add_nc_u32_e32 v6, 0x2d0, v180
	v_add_co_u32 v2, vcc_lo, v0, v2
	v_mov_b32_e32 v7, v181
	v_add_co_ci_u32_e32 v3, vcc_lo, v1, v3, vcc_lo
	s_waitcnt lgkmcnt(1)
	global_store_dwordx4 v[4:5], v[14:17], off
	v_add_nc_u32_e32 v10, 0x32a, v180
	v_mov_b32_e32 v11, v181
	v_lshlrev_b64 v[14:15], 4, v[6:7]
	v_add_nc_u32_e32 v28, 0x3de, v180
	s_waitcnt lgkmcnt(0)
	global_store_dwordx4 v[2:3], v[18:21], off
	ds_read_b128 v[2:5], v32 offset:11520
	ds_read_b128 v[6:9], v32 offset:12960
	v_add_nc_u32_e32 v18, 0x384, v180
	v_mov_b32_e32 v19, v181
	v_lshlrev_b64 v[16:17], 4, v[10:11]
	ds_read_b128 v[10:13], v32 offset:14400
	v_add_co_u32 v22, vcc_lo, v0, v14
	v_add_co_ci_u32_e32 v23, vcc_lo, v1, v15, vcc_lo
	v_lshlrev_b64 v[14:15], 4, v[18:19]
	v_add_co_u32 v24, vcc_lo, v0, v16
	v_add_co_ci_u32_e32 v25, vcc_lo, v1, v17, vcc_lo
	v_mov_b32_e32 v29, v181
	v_add_co_u32 v26, vcc_lo, v0, v14
	v_add_co_ci_u32_e32 v27, vcc_lo, v1, v15, vcc_lo
	ds_read_b128 v[14:17], v32 offset:15840
	ds_read_b128 v[18:21], v32 offset:17280
	v_add_nc_u32_e32 v30, 0x438, v180
	v_lshlrev_b64 v[28:29], 4, v[28:29]
	s_waitcnt lgkmcnt(4)
	global_store_dwordx4 v[22:23], v[2:5], off
	s_waitcnt lgkmcnt(3)
	global_store_dwordx4 v[24:25], v[6:9], off
	;; [unrolled: 2-line block ×3, first 2 shown]
	v_add_nc_u32_e32 v8, 0x492, v180
	v_mov_b32_e32 v9, v181
	v_lshlrev_b64 v[2:3], 4, v[30:31]
	v_add_nc_u32_e32 v10, 0x4ec, v180
	v_add_co_u32 v4, vcc_lo, v0, v28
	v_add_co_ci_u32_e32 v5, vcc_lo, v1, v29, vcc_lo
	v_add_co_u32 v6, vcc_lo, v0, v2
	v_add_co_ci_u32_e32 v7, vcc_lo, v1, v3, vcc_lo
	v_mov_b32_e32 v11, v181
	v_add_nc_u32_e32 v26, 0x5a0, v180
	v_mov_b32_e32 v27, v181
	s_waitcnt lgkmcnt(1)
	global_store_dwordx4 v[4:5], v[14:17], off
	s_waitcnt lgkmcnt(0)
	global_store_dwordx4 v[6:7], v[18:21], off
	v_lshlrev_b64 v[14:15], 4, v[8:9]
	ds_read_b128 v[2:5], v32 offset:18720
	v_lshlrev_b64 v[16:17], 4, v[10:11]
	v_add_nc_u32_e32 v18, 0x546, v180
	v_mov_b32_e32 v19, v181
	ds_read_b128 v[6:9], v32 offset:20160
	ds_read_b128 v[10:13], v32 offset:21600
	v_add_co_u32 v22, vcc_lo, v0, v14
	v_add_co_ci_u32_e32 v23, vcc_lo, v1, v15, vcc_lo
	v_lshlrev_b64 v[18:19], 4, v[18:19]
	v_add_co_u32 v24, vcc_lo, v0, v16
	v_add_co_ci_u32_e32 v25, vcc_lo, v1, v17, vcc_lo
	ds_read_b128 v[14:17], v32 offset:23040
	v_add_co_u32 v28, vcc_lo, v0, v18
	v_add_co_ci_u32_e32 v29, vcc_lo, v1, v19, vcc_lo
	ds_read_b128 v[18:21], v32 offset:24480
	v_add_nc_u32_e32 v30, 0x5fa, v180
	v_lshlrev_b64 v[26:27], 4, v[26:27]
	s_waitcnt lgkmcnt(4)
	global_store_dwordx4 v[22:23], v[2:5], off
	s_waitcnt lgkmcnt(3)
	global_store_dwordx4 v[24:25], v[6:9], off
	;; [unrolled: 2-line block ×3, first 2 shown]
	v_lshlrev_b64 v[2:3], 4, v[30:31]
	v_add_nc_u32_e32 v6, 0x654, v180
	v_add_co_u32 v4, vcc_lo, v0, v26
	v_add_co_ci_u32_e32 v5, vcc_lo, v1, v27, vcc_lo
	v_add_co_u32 v2, vcc_lo, v0, v2
	v_add_co_ci_u32_e32 v3, vcc_lo, v1, v3, vcc_lo
	v_mov_b32_e32 v7, v181
	v_add_nc_u32_e32 v10, 0x6ae, v180
	v_mov_b32_e32 v11, v181
	s_waitcnt lgkmcnt(1)
	global_store_dwordx4 v[4:5], v[14:17], off
	s_waitcnt lgkmcnt(0)
	global_store_dwordx4 v[2:3], v[18:21], off
	v_lshlrev_b64 v[14:15], 4, v[6:7]
	ds_read_b128 v[2:5], v32 offset:25920
	ds_read_b128 v[6:9], v32 offset:27360
	v_lshlrev_b64 v[16:17], 4, v[10:11]
	ds_read_b128 v[10:13], v32 offset:28800
	v_add_nc_u32_e32 v18, 0x708, v180
	v_mov_b32_e32 v19, v181
	v_add_co_u32 v14, vcc_lo, v0, v14
	v_add_co_ci_u32_e32 v15, vcc_lo, v1, v15, vcc_lo
	v_lshlrev_b64 v[18:19], 4, v[18:19]
	v_add_co_u32 v16, vcc_lo, v0, v16
	v_add_co_ci_u32_e32 v17, vcc_lo, v1, v17, vcc_lo
	v_add_nc_u32_e32 v20, 0x762, v180
	v_mov_b32_e32 v21, v181
	v_add_co_u32 v18, vcc_lo, v0, v18
	v_add_co_ci_u32_e32 v19, vcc_lo, v1, v19, vcc_lo
	s_waitcnt lgkmcnt(2)
	global_store_dwordx4 v[14:15], v[2:5], off
	s_waitcnt lgkmcnt(1)
	global_store_dwordx4 v[16:17], v[6:9], off
	v_lshlrev_b64 v[6:7], 4, v[20:21]
	ds_read_b128 v[2:5], v32 offset:30240
	s_waitcnt lgkmcnt(1)
	global_store_dwordx4 v[18:19], v[10:13], off
	v_add_nc_u32_e32 v10, 0x7bc, v180
	v_mov_b32_e32 v11, v181
	v_add_nc_u32_e32 v12, 0x816, v180
	v_mov_b32_e32 v13, v181
	v_add_co_u32 v18, vcc_lo, v0, v6
	v_add_co_ci_u32_e32 v19, vcc_lo, v1, v7, vcc_lo
	ds_read_b128 v[6:9], v32 offset:31680
	v_lshlrev_b64 v[20:21], 4, v[10:11]
	v_lshlrev_b64 v[22:23], 4, v[12:13]
	ds_read_b128 v[10:13], v32 offset:33120
	ds_read_b128 v[14:17], v32 offset:34560
	v_add_nc_u32_e32 v24, 0x870, v180
	v_mov_b32_e32 v25, v181
	v_add_co_u32 v20, vcc_lo, v0, v20
	v_add_co_ci_u32_e32 v21, vcc_lo, v1, v21, vcc_lo
	v_lshlrev_b64 v[24:25], 4, v[24:25]
	v_add_co_u32 v22, vcc_lo, v0, v22
	v_add_co_ci_u32_e32 v23, vcc_lo, v1, v23, vcc_lo
	v_add_co_u32 v24, vcc_lo, v0, v24
	v_add_co_ci_u32_e32 v25, vcc_lo, v1, v25, vcc_lo
	v_cmp_eq_u32_e32 vcc_lo, 0x59, v180
	s_waitcnt lgkmcnt(3)
	global_store_dwordx4 v[18:19], v[2:5], off
	s_waitcnt lgkmcnt(2)
	global_store_dwordx4 v[20:21], v[6:9], off
	;; [unrolled: 2-line block ×4, first 2 shown]
	s_and_b32 exec_lo, exec_lo, vcc_lo
	s_cbranch_execz .LBB0_32
; %bb.31:
	ds_read_b128 v[2:5], v181 offset:36000
	v_add_co_u32 v0, vcc_lo, 0x8800, v0
	v_add_co_ci_u32_e32 v1, vcc_lo, 0, v1, vcc_lo
	s_waitcnt lgkmcnt(0)
	global_store_dwordx4 v[0:1], v[2:5], off offset:1184
.LBB0_32:
	s_endpgm
	.section	.rodata,"a",@progbits
	.p2align	6, 0x0
	.amdhsa_kernel fft_rtc_fwd_len2250_factors_10_3_5_3_5_wgs_90_tpt_90_halfLds_dp_op_CI_CI_unitstride_sbrr_R2C_dirReg
		.amdhsa_group_segment_fixed_size 0
		.amdhsa_private_segment_fixed_size 12
		.amdhsa_kernarg_size 104
		.amdhsa_user_sgpr_count 6
		.amdhsa_user_sgpr_private_segment_buffer 1
		.amdhsa_user_sgpr_dispatch_ptr 0
		.amdhsa_user_sgpr_queue_ptr 0
		.amdhsa_user_sgpr_kernarg_segment_ptr 1
		.amdhsa_user_sgpr_dispatch_id 0
		.amdhsa_user_sgpr_flat_scratch_init 0
		.amdhsa_user_sgpr_private_segment_size 0
		.amdhsa_wavefront_size32 1
		.amdhsa_uses_dynamic_stack 0
		.amdhsa_system_sgpr_private_segment_wavefront_offset 1
		.amdhsa_system_sgpr_workgroup_id_x 1
		.amdhsa_system_sgpr_workgroup_id_y 0
		.amdhsa_system_sgpr_workgroup_id_z 0
		.amdhsa_system_sgpr_workgroup_info 0
		.amdhsa_system_vgpr_workitem_id 0
		.amdhsa_next_free_vgpr 255
		.amdhsa_next_free_sgpr 32
		.amdhsa_reserve_vcc 1
		.amdhsa_reserve_flat_scratch 0
		.amdhsa_float_round_mode_32 0
		.amdhsa_float_round_mode_16_64 0
		.amdhsa_float_denorm_mode_32 3
		.amdhsa_float_denorm_mode_16_64 3
		.amdhsa_dx10_clamp 1
		.amdhsa_ieee_mode 1
		.amdhsa_fp16_overflow 0
		.amdhsa_workgroup_processor_mode 1
		.amdhsa_memory_ordered 1
		.amdhsa_forward_progress 0
		.amdhsa_shared_vgpr_count 0
		.amdhsa_exception_fp_ieee_invalid_op 0
		.amdhsa_exception_fp_denorm_src 0
		.amdhsa_exception_fp_ieee_div_zero 0
		.amdhsa_exception_fp_ieee_overflow 0
		.amdhsa_exception_fp_ieee_underflow 0
		.amdhsa_exception_fp_ieee_inexact 0
		.amdhsa_exception_int_div_zero 0
	.end_amdhsa_kernel
	.text
.Lfunc_end0:
	.size	fft_rtc_fwd_len2250_factors_10_3_5_3_5_wgs_90_tpt_90_halfLds_dp_op_CI_CI_unitstride_sbrr_R2C_dirReg, .Lfunc_end0-fft_rtc_fwd_len2250_factors_10_3_5_3_5_wgs_90_tpt_90_halfLds_dp_op_CI_CI_unitstride_sbrr_R2C_dirReg
                                        ; -- End function
	.section	.AMDGPU.csdata,"",@progbits
; Kernel info:
; codeLenInByte = 24932
; NumSgprs: 34
; NumVgprs: 255
; ScratchSize: 12
; MemoryBound: 0
; FloatMode: 240
; IeeeMode: 1
; LDSByteSize: 0 bytes/workgroup (compile time only)
; SGPRBlocks: 4
; VGPRBlocks: 31
; NumSGPRsForWavesPerEU: 34
; NumVGPRsForWavesPerEU: 255
; Occupancy: 4
; WaveLimiterHint : 1
; COMPUTE_PGM_RSRC2:SCRATCH_EN: 1
; COMPUTE_PGM_RSRC2:USER_SGPR: 6
; COMPUTE_PGM_RSRC2:TRAP_HANDLER: 0
; COMPUTE_PGM_RSRC2:TGID_X_EN: 1
; COMPUTE_PGM_RSRC2:TGID_Y_EN: 0
; COMPUTE_PGM_RSRC2:TGID_Z_EN: 0
; COMPUTE_PGM_RSRC2:TIDIG_COMP_CNT: 0
	.text
	.p2alignl 6, 3214868480
	.fill 48, 4, 3214868480
	.type	__hip_cuid_2ccd34797117d62f,@object ; @__hip_cuid_2ccd34797117d62f
	.section	.bss,"aw",@nobits
	.globl	__hip_cuid_2ccd34797117d62f
__hip_cuid_2ccd34797117d62f:
	.byte	0                               ; 0x0
	.size	__hip_cuid_2ccd34797117d62f, 1

	.ident	"AMD clang version 19.0.0git (https://github.com/RadeonOpenCompute/llvm-project roc-6.4.0 25133 c7fe45cf4b819c5991fe208aaa96edf142730f1d)"
	.section	".note.GNU-stack","",@progbits
	.addrsig
	.addrsig_sym __hip_cuid_2ccd34797117d62f
	.amdgpu_metadata
---
amdhsa.kernels:
  - .args:
      - .actual_access:  read_only
        .address_space:  global
        .offset:         0
        .size:           8
        .value_kind:     global_buffer
      - .offset:         8
        .size:           8
        .value_kind:     by_value
      - .actual_access:  read_only
        .address_space:  global
        .offset:         16
        .size:           8
        .value_kind:     global_buffer
      - .actual_access:  read_only
        .address_space:  global
        .offset:         24
        .size:           8
        .value_kind:     global_buffer
      - .actual_access:  read_only
        .address_space:  global
        .offset:         32
        .size:           8
        .value_kind:     global_buffer
      - .offset:         40
        .size:           8
        .value_kind:     by_value
      - .actual_access:  read_only
        .address_space:  global
        .offset:         48
        .size:           8
        .value_kind:     global_buffer
      - .actual_access:  read_only
        .address_space:  global
        .offset:         56
        .size:           8
        .value_kind:     global_buffer
      - .offset:         64
        .size:           4
        .value_kind:     by_value
      - .actual_access:  read_only
        .address_space:  global
        .offset:         72
        .size:           8
        .value_kind:     global_buffer
      - .actual_access:  read_only
        .address_space:  global
        .offset:         80
        .size:           8
        .value_kind:     global_buffer
      - .actual_access:  read_only
        .address_space:  global
        .offset:         88
        .size:           8
        .value_kind:     global_buffer
      - .actual_access:  write_only
        .address_space:  global
        .offset:         96
        .size:           8
        .value_kind:     global_buffer
    .group_segment_fixed_size: 0
    .kernarg_segment_align: 8
    .kernarg_segment_size: 104
    .language:       OpenCL C
    .language_version:
      - 2
      - 0
    .max_flat_workgroup_size: 90
    .name:           fft_rtc_fwd_len2250_factors_10_3_5_3_5_wgs_90_tpt_90_halfLds_dp_op_CI_CI_unitstride_sbrr_R2C_dirReg
    .private_segment_fixed_size: 12
    .sgpr_count:     34
    .sgpr_spill_count: 0
    .symbol:         fft_rtc_fwd_len2250_factors_10_3_5_3_5_wgs_90_tpt_90_halfLds_dp_op_CI_CI_unitstride_sbrr_R2C_dirReg.kd
    .uniform_work_group_size: 1
    .uses_dynamic_stack: false
    .vgpr_count:     255
    .vgpr_spill_count: 2
    .wavefront_size: 32
    .workgroup_processor_mode: 1
amdhsa.target:   amdgcn-amd-amdhsa--gfx1030
amdhsa.version:
  - 1
  - 2
...

	.end_amdgpu_metadata
